;; amdgpu-corpus repo=ROCm/rocFFT kind=compiled arch=gfx950 opt=O3
	.text
	.amdgcn_target "amdgcn-amd-amdhsa--gfx950"
	.amdhsa_code_object_version 6
	.protected	bluestein_single_fwd_len468_dim1_sp_op_CI_CI ; -- Begin function bluestein_single_fwd_len468_dim1_sp_op_CI_CI
	.globl	bluestein_single_fwd_len468_dim1_sp_op_CI_CI
	.p2align	8
	.type	bluestein_single_fwd_len468_dim1_sp_op_CI_CI,@function
bluestein_single_fwd_len468_dim1_sp_op_CI_CI: ; @bluestein_single_fwd_len468_dim1_sp_op_CI_CI
; %bb.0:
	s_load_dwordx4 s[8:11], s[0:1], 0x28
	v_mul_u32_u24_e32 v1, 0x4ed, v0
	v_add_u32_sdwa v54, s2, v1 dst_sel:DWORD dst_unused:UNUSED_PAD src0_sel:DWORD src1_sel:WORD_1
	v_mov_b32_e32 v55, 0
	s_waitcnt lgkmcnt(0)
	v_cmp_gt_u64_e32 vcc, s[8:9], v[54:55]
	s_and_saveexec_b64 s[2:3], vcc
	s_cbranch_execz .LBB0_23
; %bb.1:
	s_load_dwordx2 s[2:3], s[0:1], 0x0
	s_load_dwordx2 s[8:9], s[0:1], 0x38
	v_mov_b32_e32 v2, 52
	v_mul_lo_u16_sdwa v1, v1, v2 dst_sel:DWORD dst_unused:UNUSED_PAD src0_sel:WORD_1 src1_sel:DWORD
	v_sub_u16_e32 v172, v0, v1
	v_cmp_gt_u16_e32 vcc, 36, v172
	v_lshlrev_b32_e32 v55, 3, v172
	s_and_saveexec_b64 s[12:13], vcc
	s_cbranch_execz .LBB0_3
; %bb.2:
	s_load_dwordx2 s[4:5], s[0:1], 0x18
	v_mov_b32_e32 v0, s10
	v_mov_b32_e32 v1, s11
	;; [unrolled: 1-line block ×3, first 2 shown]
	s_waitcnt lgkmcnt(0)
	s_load_dwordx4 s[4:7], s[4:5], 0x0
	s_waitcnt lgkmcnt(0)
	v_mad_u64_u32 v[2:3], s[10:11], s6, v54, 0
	v_mad_u64_u32 v[4:5], s[10:11], s4, v172, 0
	v_mov_b32_e32 v6, v3
	v_mov_b32_e32 v8, v5
	v_mad_u64_u32 v[6:7], s[6:7], s7, v54, v[6:7]
	v_mov_b32_e32 v3, v6
	v_mad_u64_u32 v[6:7], s[6:7], s5, v172, v[8:9]
	v_mov_b32_e32 v5, v6
	v_lshl_add_u64 v[0:1], v[2:3], 3, v[0:1]
	v_lshl_add_u64 v[0:1], v[4:5], 3, v[0:1]
	global_load_dwordx2 v[2:3], v[0:1], off
	v_mad_u64_u32 v[0:1], s[6:7], s4, v50, v[0:1]
	s_mul_i32 s10, s5, 0x120
	v_add_u32_e32 v1, s10, v1
	global_load_dwordx2 v[4:5], v[0:1], off
	global_load_dwordx2 v[6:7], v55, s[2:3]
	v_mad_u64_u32 v[0:1], s[6:7], s4, v50, v[0:1]
	v_add_u32_e32 v1, s10, v1
	v_mad_u64_u32 v[10:11], s[6:7], s4, v50, v[0:1]
	v_add_u32_e32 v11, s10, v11
	global_load_dwordx2 v[8:9], v55, s[2:3] offset:288
	global_load_dwordx2 v[12:13], v55, s[2:3] offset:576
	;; [unrolled: 1-line block ×3, first 2 shown]
	global_load_dwordx2 v[16:17], v[0:1], off
	v_mad_u64_u32 v[0:1], s[6:7], s4, v50, v[10:11]
	v_add_u32_e32 v1, s10, v1
	global_load_dwordx2 v[18:19], v[10:11], off
	global_load_dwordx2 v[20:21], v[0:1], off
	v_mad_u64_u32 v[0:1], s[6:7], s4, v50, v[0:1]
	v_add_u32_e32 v1, s10, v1
	global_load_dwordx2 v[10:11], v55, s[2:3] offset:1152
	global_load_dwordx2 v[22:23], v[0:1], off
	v_mad_u64_u32 v[0:1], s[6:7], s4, v50, v[0:1]
	v_add_u32_e32 v1, s10, v1
	global_load_dwordx2 v[26:27], v[0:1], off
	v_mad_u64_u32 v[0:1], s[6:7], s4, v50, v[0:1]
	v_add_u32_e32 v1, s10, v1
	global_load_dwordx2 v[24:25], v55, s[2:3] offset:1440
	global_load_dwordx2 v[28:29], v55, s[2:3] offset:1728
	global_load_dwordx2 v[30:31], v[0:1], off
	global_load_dwordx2 v[32:33], v55, s[2:3] offset:2016
	v_mad_u64_u32 v[0:1], s[6:7], s4, v50, v[0:1]
	v_add_u32_e32 v1, s10, v1
	global_load_dwordx2 v[34:35], v[0:1], off
	global_load_dwordx2 v[36:37], v55, s[2:3] offset:2304
	v_mad_u64_u32 v[0:1], s[6:7], s4, v50, v[0:1]
	v_add_u32_e32 v1, s10, v1
	;; [unrolled: 4-line block ×5, first 2 shown]
	global_load_dwordx2 v[50:51], v55, s[2:3] offset:3456
	global_load_dwordx2 v[52:53], v[0:1], off
	s_waitcnt vmcnt(23)
	v_mul_f32_e32 v0, v3, v7
	v_mul_f32_e32 v1, v2, v7
	v_fmac_f32_e32 v0, v2, v6
	v_fma_f32 v1, v3, v6, -v1
	s_waitcnt vmcnt(22)
	v_mul_f32_e32 v2, v5, v9
	v_mul_f32_e32 v3, v4, v9
	v_fmac_f32_e32 v2, v4, v8
	v_fma_f32 v3, v5, v8, -v3
	ds_write2_b64 v55, v[0:1], v[2:3] offset1:36
	s_waitcnt vmcnt(19)
	v_mul_f32_e32 v0, v17, v13
	v_mul_f32_e32 v1, v16, v13
	s_waitcnt vmcnt(18)
	v_mul_f32_e32 v2, v19, v15
	v_mul_f32_e32 v3, v18, v15
	v_fmac_f32_e32 v0, v16, v12
	v_fma_f32 v1, v17, v12, -v1
	v_fmac_f32_e32 v2, v18, v14
	v_fma_f32 v3, v19, v14, -v3
	ds_write2_b64 v55, v[0:1], v[2:3] offset0:72 offset1:108
	s_waitcnt vmcnt(16)
	v_mul_f32_e32 v0, v21, v11
	v_mul_f32_e32 v1, v20, v11
	v_fmac_f32_e32 v0, v20, v10
	s_waitcnt vmcnt(13)
	v_mul_f32_e32 v2, v23, v25
	v_mul_f32_e32 v3, v22, v25
	v_fma_f32 v1, v21, v10, -v1
	v_fmac_f32_e32 v2, v22, v24
	v_fma_f32 v3, v23, v24, -v3
	ds_write2_b64 v55, v[0:1], v[2:3] offset0:144 offset1:180
	s_waitcnt vmcnt(12)
	v_mul_f32_e32 v0, v27, v29
	v_mul_f32_e32 v1, v26, v29
	s_waitcnt vmcnt(10)
	v_mul_f32_e32 v2, v31, v33
	v_mul_f32_e32 v3, v30, v33
	v_fmac_f32_e32 v0, v26, v28
	v_fma_f32 v1, v27, v28, -v1
	v_fmac_f32_e32 v2, v30, v32
	v_fma_f32 v3, v31, v32, -v3
	ds_write2_b64 v55, v[0:1], v[2:3] offset0:216 offset1:252
	s_waitcnt vmcnt(8)
	v_mul_f32_e32 v0, v35, v37
	v_mul_f32_e32 v1, v34, v37
	s_waitcnt vmcnt(6)
	v_mul_f32_e32 v2, v39, v41
	v_mul_f32_e32 v3, v38, v41
	v_fmac_f32_e32 v0, v34, v36
	v_fma_f32 v1, v35, v36, -v1
	v_fmac_f32_e32 v2, v38, v40
	v_fma_f32 v3, v39, v40, -v3
	v_add_u32_e32 v4, 0x800, v55
	ds_write2_b64 v4, v[0:1], v[2:3] offset0:32 offset1:68
	s_waitcnt vmcnt(4)
	v_mul_f32_e32 v0, v43, v45
	v_mul_f32_e32 v1, v42, v45
	s_waitcnt vmcnt(2)
	v_mul_f32_e32 v2, v47, v49
	v_mul_f32_e32 v3, v46, v49
	v_fmac_f32_e32 v0, v42, v44
	v_fma_f32 v1, v43, v44, -v1
	v_fmac_f32_e32 v2, v46, v48
	v_fma_f32 v3, v47, v48, -v3
	ds_write2_b64 v4, v[0:1], v[2:3] offset0:104 offset1:140
	s_waitcnt vmcnt(0)
	v_mul_f32_e32 v0, v53, v51
	v_mul_f32_e32 v1, v52, v51
	v_fmac_f32_e32 v0, v52, v50
	v_fma_f32 v1, v53, v50, -v1
	ds_write_b64 v55, v[0:1] offset:3456
.LBB0_3:
	s_or_b64 exec, exec, s[12:13]
	s_load_dwordx2 s[4:5], s[0:1], 0x20
	s_load_dwordx2 s[10:11], s[0:1], 0x8
	v_mov_b64_e32 v[0:1], 0
	s_waitcnt lgkmcnt(0)
	; wave barrier
	s_waitcnt lgkmcnt(0)
                                        ; implicit-def: $vgpr6
                                        ; implicit-def: $vgpr12
                                        ; implicit-def: $vgpr10
                                        ; implicit-def: $vgpr20
                                        ; implicit-def: $vgpr18
                                        ; implicit-def: $vgpr46
	s_and_saveexec_b64 s[0:1], vcc
	s_cbranch_execz .LBB0_5
; %bb.4:
	ds_read2_b64 v[0:3], v55 offset1:36
	ds_read2_b64 v[16:19], v55 offset0:72 offset1:108
	ds_read2_b64 v[8:11], v55 offset0:144 offset1:180
	;; [unrolled: 1-line block ×3, first 2 shown]
	v_add_u32_e32 v20, 0x800, v55
	ds_read2_b64 v[12:15], v20 offset0:32 offset1:68
	ds_read2_b64 v[20:23], v20 offset0:104 offset1:140
	ds_read_b64 v[46:47], v55 offset:3456
.LBB0_5:
	s_or_b64 exec, exec, s[0:1]
	s_waitcnt lgkmcnt(0)
	v_pk_add_f32 v[44:45], v[2:3], v[46:47] neg_lo:[0,1] neg_hi:[0,1]
	s_mov_b32 s20, 0xbf52af12
	v_pk_add_f32 v[42:43], v[46:47], v[2:3]
	v_pk_add_f32 v[40:41], v[16:17], v[22:23] neg_lo:[0,1] neg_hi:[0,1]
	s_mov_b32 s0, 0x3f116cb1
	s_mov_b32 s12, 0xbf6f5d39
	v_pk_mul_f32 v[26:27], v[44:45], s[20:21] op_sel_hi:[1,0]
	v_pk_add_f32 v[38:39], v[22:23], v[16:17]
	v_pk_add_f32 v[36:37], v[18:19], v[20:21] neg_lo:[0,1] neg_hi:[0,1]
	s_mov_b32 s6, 0xbeb58ec6
	s_mov_b32 s18, 0xbe750f2a
	v_pk_fma_f32 v[60:61], v[42:43], s[0:1], v[26:27] op_sel:[0,0,1] op_sel_hi:[1,0,0]
	v_pk_fma_f32 v[62:63], v[42:43], s[0:1], v[26:27] op_sel:[0,0,1] op_sel_hi:[1,0,0] neg_lo:[0,0,1] neg_hi:[0,0,1]
	v_pk_mul_f32 v[28:29], v[40:41], s[12:13] op_sel_hi:[1,0]
	v_pk_add_f32 v[34:35], v[20:21], v[18:19]
	s_mov_b32 s16, 0xbf788fa5
	v_mov_b32_e32 v26, v60
	v_mov_b32_e32 v27, v63
	v_pk_fma_f32 v[64:65], v[38:39], s[6:7], v[28:29] op_sel:[0,0,1] op_sel_hi:[1,0,0]
	v_pk_fma_f32 v[66:67], v[38:39], s[6:7], v[28:29] op_sel:[0,0,1] op_sel_hi:[1,0,0] neg_lo:[0,0,1] neg_hi:[0,0,1]
	v_pk_mul_f32 v[32:33], v[36:37], s[18:19] op_sel_hi:[1,0]
	v_mov_b32_e32 v28, v64
	v_mov_b32_e32 v29, v67
	v_pk_fma_f32 v[68:69], v[34:35], s[16:17], v[32:33] op_sel:[0,0,1] op_sel_hi:[1,0,0]
	v_pk_fma_f32 v[70:71], v[34:35], s[16:17], v[32:33] op_sel:[0,0,1] op_sel_hi:[1,0,0] neg_lo:[0,0,1] neg_hi:[0,0,1]
	v_pk_add_f32 v[26:27], v[26:27], v[0:1]
	v_pk_add_f32 v[30:31], v[8:9], v[14:15] neg_lo:[0,1] neg_hi:[0,1]
	v_pk_add_f32 v[26:27], v[28:29], v[26:27]
	v_mov_b32_e32 v28, v68
	v_mov_b32_e32 v29, v71
	s_mov_b32 s36, 0x3f29c268
	v_pk_add_f32 v[24:25], v[14:15], v[8:9]
	s_mov_b32 s14, 0xbf3f9e67
	v_pk_add_f32 v[26:27], v[28:29], v[26:27]
	v_pk_mul_f32 v[28:29], v[30:31], s[36:37] op_sel_hi:[1,0]
	s_mov_b32 s24, 0x3f7e222b
	v_pk_fma_f32 v[72:73], v[24:25], s[14:15], v[28:29] op_sel:[0,0,1] op_sel_hi:[1,0,0]
	v_pk_fma_f32 v[74:75], v[24:25], s[14:15], v[28:29] op_sel:[0,0,1] op_sel_hi:[1,0,0] neg_lo:[0,0,1] neg_hi:[0,0,1]
	v_mov_b32_e32 v28, v72
	v_mov_b32_e32 v29, v75
	v_pk_add_f32 v[50:51], v[10:11], v[12:13] neg_lo:[0,1] neg_hi:[0,1]
	v_pk_add_f32 v[26:27], v[28:29], v[26:27]
	s_mov_b32 s22, 0x3df6dbef
	v_pk_add_f32 v[48:49], v[12:13], v[10:11]
	v_pk_mul_f32 v[28:29], v[50:51], s[24:25] op_sel_hi:[1,0]
	s_mov_b32 s34, 0xbf7e222b
	v_pk_fma_f32 v[76:77], v[48:49], s[22:23], v[28:29] op_sel:[0,0,1] op_sel_hi:[1,0,0]
	v_pk_fma_f32 v[78:79], v[48:49], s[22:23], v[28:29] op_sel:[0,0,1] op_sel_hi:[1,0,0] neg_lo:[0,0,1] neg_hi:[0,0,1]
	v_mov_b32_e32 v28, v76
	v_mov_b32_e32 v29, v79
	v_pk_add_f32 v[26:27], v[28:29], v[26:27]
	v_pk_mul_f32 v[28:29], v[44:45], s[34:35] op_sel_hi:[1,0]
	v_pk_mul_f32 v[32:33], v[40:41], s[18:19] op_sel_hi:[1,0]
	v_pk_fma_f32 v[80:81], v[42:43], s[22:23], v[28:29] op_sel:[0,0,1] op_sel_hi:[1,0,0]
	v_pk_fma_f32 v[82:83], v[42:43], s[22:23], v[28:29] op_sel:[0,0,1] op_sel_hi:[1,0,0] neg_lo:[0,0,1] neg_hi:[0,0,1]
	v_mov_b32_e32 v28, v80
	v_mov_b32_e32 v29, v83
	v_pk_fma_f32 v[84:85], v[38:39], s[16:17], v[32:33] op_sel:[0,0,1] op_sel_hi:[1,0,0]
	v_pk_fma_f32 v[86:87], v[38:39], s[16:17], v[32:33] op_sel:[0,0,1] op_sel_hi:[1,0,0] neg_lo:[0,0,1] neg_hi:[0,0,1]
	v_mov_b32_e32 v32, v84
	v_mov_b32_e32 v33, v87
	v_pk_add_f32 v[28:29], v[28:29], v[0:1]
	s_mov_b32 s26, 0x3f6f5d39
	v_pk_add_f32 v[28:29], v[32:33], v[28:29]
	v_pk_mul_f32 v[32:33], v[36:37], s[26:27] op_sel_hi:[1,0]
	s_mov_b32 s28, 0x3eedf032
	v_pk_fma_f32 v[88:89], v[34:35], s[6:7], v[32:33] op_sel:[0,0,1] op_sel_hi:[1,0,0]
	v_pk_fma_f32 v[90:91], v[34:35], s[6:7], v[32:33] op_sel:[0,0,1] op_sel_hi:[1,0,0] neg_lo:[0,0,1] neg_hi:[0,0,1]
	v_mov_b32_e32 v32, v88
	v_mov_b32_e32 v33, v91
	v_pk_add_f32 v[28:29], v[32:33], v[28:29]
	s_mov_b32 s26, 0x3f62ad3f
	v_pk_mul_f32 v[32:33], v[30:31], s[28:29] op_sel_hi:[1,0]
	v_pk_add_f32 v[58:59], v[4:5], v[6:7] neg_lo:[0,1] neg_hi:[0,1]
	v_pk_fma_f32 v[92:93], v[24:25], s[26:27], v[32:33] op_sel:[0,0,1] op_sel_hi:[1,0,0]
	v_pk_fma_f32 v[94:95], v[24:25], s[26:27], v[32:33] op_sel:[0,0,1] op_sel_hi:[1,0,0] neg_lo:[0,0,1] neg_hi:[0,0,1]
	v_mov_b32_e32 v32, v92
	v_mov_b32_e32 v33, v95
	v_pk_add_f32 v[28:29], v[32:33], v[28:29]
	v_pk_mul_f32 v[32:33], v[50:51], s[20:21] op_sel_hi:[1,0]
	v_pk_add_f32 v[52:53], v[6:7], v[4:5]
	v_pk_fma_f32 v[96:97], v[48:49], s[0:1], v[32:33] op_sel:[0,0,1] op_sel_hi:[1,0,0]
	v_pk_fma_f32 v[98:99], v[48:49], s[0:1], v[32:33] op_sel:[0,0,1] op_sel_hi:[1,0,0] neg_lo:[0,0,1] neg_hi:[0,0,1]
	v_mov_b32_e32 v32, v96
	v_mov_b32_e32 v33, v99
	v_pk_add_f32 v[32:33], v[32:33], v[28:29]
	v_pk_mul_f32 v[28:29], v[58:59], s[28:29] op_sel_hi:[1,0]
	s_mov_b32 s30, 0xbf29c268
	v_pk_fma_f32 v[104:105], v[52:53], s[26:27], v[28:29] op_sel:[0,0,1] op_sel_hi:[1,0,0]
	v_pk_fma_f32 v[106:107], v[52:53], s[26:27], v[28:29] op_sel:[0,0,1] op_sel_hi:[1,0,0] neg_lo:[0,0,1] neg_hi:[0,0,1]
	v_mov_b32_e32 v28, v104
	v_mov_b32_e32 v29, v107
	v_pk_add_f32 v[28:29], v[28:29], v[26:27]
	v_pk_mul_f32 v[26:27], v[58:59], s[30:31] op_sel_hi:[1,0]
	s_mov_b32 s38, 0xbeedf032
	v_pk_fma_f32 v[100:101], v[52:53], s[14:15], v[26:27] op_sel:[0,0,1] op_sel_hi:[1,0,0]
	v_pk_fma_f32 v[102:103], v[52:53], s[14:15], v[26:27] op_sel:[0,0,1] op_sel_hi:[1,0,0] neg_lo:[0,0,1] neg_hi:[0,0,1]
	v_mov_b32_e32 v26, v100
	v_mov_b32_e32 v27, v103
	v_pk_add_f32 v[26:27], v[26:27], v[32:33]
	v_pk_mul_f32 v[32:33], v[44:45], s[38:39] op_sel_hi:[1,0]
	v_pk_mul_f32 v[56:57], v[40:41], s[20:21] op_sel_hi:[1,0]
	v_pk_fma_f32 v[134:135], v[42:43], s[26:27], v[32:33] op_sel:[0,0,1] op_sel_hi:[1,0,0]
	v_pk_fma_f32 v[128:129], v[42:43], s[26:27], v[32:33] op_sel:[0,0,1] op_sel_hi:[1,0,0] neg_lo:[0,0,1] neg_hi:[0,0,1]
	v_mov_b32_e32 v32, v134
	v_mov_b32_e32 v33, v129
	v_pk_fma_f32 v[138:139], v[38:39], s[0:1], v[56:57] op_sel:[0,0,1] op_sel_hi:[1,0,0]
	v_pk_fma_f32 v[136:137], v[38:39], s[0:1], v[56:57] op_sel:[0,0,1] op_sel_hi:[1,0,0] neg_lo:[0,0,1] neg_hi:[0,0,1]
	v_pk_add_f32 v[32:33], v[32:33], v[0:1]
	v_mov_b32_e32 v56, v138
	v_mov_b32_e32 v57, v137
	v_pk_add_f32 v[32:33], v[56:57], v[32:33]
	v_pk_mul_f32 v[56:57], v[36:37], s[34:35] op_sel_hi:[1,0]
	v_pk_mul_f32 v[114:115], v[40:41], s[36:37] op_sel_hi:[1,0]
	v_pk_fma_f32 v[140:141], v[34:35], s[22:23], v[56:57] op_sel:[0,0,1] op_sel_hi:[1,0,0]
	v_pk_fma_f32 v[142:143], v[34:35], s[22:23], v[56:57] op_sel:[0,0,1] op_sel_hi:[1,0,0] neg_lo:[0,0,1] neg_hi:[0,0,1]
	v_mov_b32_e32 v56, v140
	v_mov_b32_e32 v57, v143
	v_pk_add_f32 v[32:33], v[56:57], v[32:33]
	v_pk_mul_f32 v[56:57], v[30:31], s[12:13] op_sel_hi:[1,0]
	v_pk_fma_f32 v[112:113], v[38:39], s[14:15], v[114:115] op_sel:[0,0,1] op_sel_hi:[1,0,0]
	v_pk_fma_f32 v[144:145], v[24:25], s[6:7], v[56:57] op_sel:[0,0,1] op_sel_hi:[1,0,0]
	v_pk_fma_f32 v[146:147], v[24:25], s[6:7], v[56:57] op_sel:[0,0,1] op_sel_hi:[1,0,0] neg_lo:[0,0,1] neg_hi:[0,0,1]
	v_mov_b32_e32 v56, v144
	v_mov_b32_e32 v57, v147
	v_pk_add_f32 v[32:33], v[56:57], v[32:33]
	v_pk_mul_f32 v[56:57], v[50:51], s[30:31] op_sel_hi:[1,0]
	v_pk_fma_f32 v[114:115], v[38:39], s[14:15], v[114:115] op_sel:[0,0,1] op_sel_hi:[1,0,0] neg_lo:[0,0,1] neg_hi:[0,0,1]
	v_pk_fma_f32 v[148:149], v[48:49], s[14:15], v[56:57] op_sel:[0,0,1] op_sel_hi:[1,0,0]
	v_pk_fma_f32 v[150:151], v[48:49], s[14:15], v[56:57] op_sel:[0,0,1] op_sel_hi:[1,0,0] neg_lo:[0,0,1] neg_hi:[0,0,1]
	v_mov_b32_e32 v56, v148
	v_mov_b32_e32 v57, v151
	v_pk_add_f32 v[32:33], v[56:57], v[32:33]
	v_pk_mul_f32 v[56:57], v[58:59], s[18:19] op_sel_hi:[1,0]
	v_mov_b32_e32 v116, v112
	v_pk_fma_f32 v[152:153], v[52:53], s[16:17], v[56:57] op_sel:[0,0,1] op_sel_hi:[1,0,0]
	v_pk_fma_f32 v[154:155], v[52:53], s[16:17], v[56:57] op_sel:[0,0,1] op_sel_hi:[1,0,0] neg_lo:[0,0,1] neg_hi:[0,0,1]
	v_mov_b32_e32 v56, v152
	v_mov_b32_e32 v57, v155
	v_pk_add_f32 v[56:57], v[56:57], v[32:33]
	v_pk_mul_f32 v[32:33], v[44:45], s[12:13] op_sel_hi:[1,0]
	v_mov_b32_e32 v117, v115
	v_pk_fma_f32 v[108:109], v[42:43], s[6:7], v[32:33] op_sel:[0,0,1] op_sel_hi:[1,0,0]
	v_pk_fma_f32 v[110:111], v[42:43], s[6:7], v[32:33] op_sel:[0,0,1] op_sel_hi:[1,0,0] neg_lo:[0,0,1] neg_hi:[0,0,1]
	v_mov_b32_e32 v32, v108
	v_mov_b32_e32 v33, v111
	v_pk_add_f32 v[32:33], v[32:33], v[0:1]
	v_pk_mul_f32 v[118:119], v[36:37], s[28:29] op_sel_hi:[1,0]
	v_pk_add_f32 v[32:33], v[116:117], v[32:33]
	v_pk_fma_f32 v[116:117], v[34:35], s[26:27], v[118:119] op_sel:[0,0,1] op_sel_hi:[1,0,0]
	v_pk_fma_f32 v[118:119], v[34:35], s[26:27], v[118:119] op_sel:[0,0,1] op_sel_hi:[1,0,0] neg_lo:[0,0,1] neg_hi:[0,0,1]
	v_mov_b32_e32 v120, v116
	v_mov_b32_e32 v121, v119
	v_pk_mul_f32 v[122:123], v[30:31], s[34:35] op_sel_hi:[1,0]
	v_pk_add_f32 v[32:33], v[120:121], v[32:33]
	v_pk_fma_f32 v[120:121], v[24:25], s[22:23], v[122:123] op_sel:[0,0,1] op_sel_hi:[1,0,0]
	v_pk_fma_f32 v[122:123], v[24:25], s[22:23], v[122:123] op_sel:[0,0,1] op_sel_hi:[1,0,0] neg_lo:[0,0,1] neg_hi:[0,0,1]
	s_mov_b32 s38, 0x3e750f2a
	v_mov_b32_e32 v124, v120
	v_mov_b32_e32 v125, v123
	v_pk_mul_f32 v[126:127], v[50:51], s[38:39] op_sel_hi:[1,0]
	v_pk_add_f32 v[32:33], v[124:125], v[32:33]
	v_pk_fma_f32 v[124:125], v[48:49], s[16:17], v[126:127] op_sel:[0,0,1] op_sel_hi:[1,0,0]
	v_pk_fma_f32 v[126:127], v[48:49], s[16:17], v[126:127] op_sel:[0,0,1] op_sel_hi:[1,0,0] neg_lo:[0,0,1] neg_hi:[0,0,1]
	s_mov_b32 s36, 0x3f52af12
	v_mov_b32_e32 v130, v124
	v_mov_b32_e32 v131, v127
	v_pk_mul_f32 v[132:133], v[58:59], s[36:37] op_sel_hi:[1,0]
	v_pk_add_f32 v[32:33], v[130:131], v[32:33]
	v_pk_fma_f32 v[130:131], v[52:53], s[0:1], v[132:133] op_sel:[0,0,1] op_sel_hi:[1,0,0]
	v_pk_fma_f32 v[132:133], v[52:53], s[0:1], v[132:133] op_sel:[0,0,1] op_sel_hi:[1,0,0] neg_lo:[0,0,1] neg_hi:[0,0,1]
	v_mov_b32_e32 v156, v130
	v_mov_b32_e32 v157, v133
	v_pk_add_f32 v[32:33], v[156:157], v[32:33]
	v_mul_lo_u16_e32 v174, 13, v172
	s_waitcnt lgkmcnt(0)
	; wave barrier
	s_and_saveexec_b64 s[34:35], vcc
	s_cbranch_execz .LBB0_7
; %bb.6:
	v_pk_add_f32 v[2:3], v[2:3], v[0:1]
	v_mov_b32_e32 v129, v135
	v_pk_add_f32 v[2:3], v[16:17], v[2:3]
	v_mov_b32_e32 v137, v139
	;; [unrolled: 2-line block ×5, first 2 shown]
	v_pk_add_f32 v[2:3], v[4:5], v[2:3]
	v_pk_add_f32 v[4:5], v[128:129], v[0:1]
	;; [unrolled: 1-line block ×11, first 2 shown]
	v_mov_b32_e32 v155, v153
	v_pk_add_f32 v[2:3], v[46:47], v[2:3]
	v_lshlrev_b32_e32 v68, 3, v174
	v_pk_add_f32 v[4:5], v[154:155], v[4:5]
	v_mov_b32_e32 v63, v61
	v_mov_b32_e32 v83, v81
	ds_write2_b64 v68, v[2:3], v[4:5] offset1:1
	v_pk_add_f32 v[2:3], v[62:63], v[0:1]
	v_mov_b32_e32 v67, v65
	v_pk_add_f32 v[4:5], v[82:83], v[0:1]
	v_mov_b32_e32 v87, v85
	;; [unrolled: 2-line block ×10, first 2 shown]
	v_pk_add_f32 v[2:3], v[106:107], v[2:3]
	v_pk_add_f32 v[4:5], v[102:103], v[4:5]
	ds_write2_b64 v68, v[2:3], v[4:5] offset0:2 offset1:3
	v_pk_mul_f32 v[4:5], v[44:45], s[30:31] op_sel_hi:[1,0]
	v_pk_mul_f32 v[6:7], v[40:41], s[24:25] op_sel_hi:[1,0]
	v_pk_fma_f32 v[16:17], v[42:43], s[14:15], v[4:5] op_sel:[0,0,1] op_sel_hi:[1,0,0] neg_lo:[0,0,1] neg_hi:[0,0,1]
	v_pk_fma_f32 v[4:5], v[42:43], s[14:15], v[4:5] op_sel:[0,0,1] op_sel_hi:[1,0,0]
	v_mov_b32_e32 v18, v16
	v_mov_b32_e32 v19, v5
	v_pk_fma_f32 v[20:21], v[38:39], s[22:23], v[6:7] op_sel:[0,0,1] op_sel_hi:[1,0,0] neg_lo:[0,0,1] neg_hi:[0,0,1]
	v_pk_fma_f32 v[6:7], v[38:39], s[22:23], v[6:7] op_sel:[0,0,1] op_sel_hi:[1,0,0]
	v_pk_mul_f32 v[8:9], v[36:37], s[20:21] op_sel_hi:[1,0]
	v_pk_add_f32 v[18:19], v[18:19], v[0:1]
	v_mov_b32_e32 v22, v20
	v_mov_b32_e32 v23, v7
	v_pk_add_f32 v[18:19], v[22:23], v[18:19]
	v_pk_fma_f32 v[22:23], v[34:35], s[0:1], v[8:9] op_sel:[0,0,1] op_sel_hi:[1,0,0] neg_lo:[0,0,1] neg_hi:[0,0,1]
	v_pk_fma_f32 v[8:9], v[34:35], s[0:1], v[8:9] op_sel:[0,0,1] op_sel_hi:[1,0,0]
	v_pk_mul_f32 v[10:11], v[30:31], s[38:39] op_sel_hi:[1,0]
	v_mov_b32_e32 v46, v22
	v_mov_b32_e32 v47, v9
	;; [unrolled: 1-line block ×3, first 2 shown]
	v_pk_add_f32 v[18:19], v[46:47], v[18:19]
	v_pk_fma_f32 v[46:47], v[24:25], s[16:17], v[10:11] op_sel:[0,0,1] op_sel_hi:[1,0,0] neg_lo:[0,0,1] neg_hi:[0,0,1]
	v_pk_fma_f32 v[10:11], v[24:25], s[16:17], v[10:11] op_sel:[0,0,1] op_sel_hi:[1,0,0]
	v_pk_add_f32 v[2:3], v[110:111], v[0:1]
	v_mov_b32_e32 v115, v113
	v_pk_mul_f32 v[12:13], v[50:51], s[28:29] op_sel_hi:[1,0]
	v_mov_b32_e32 v60, v46
	v_mov_b32_e32 v61, v11
	v_pk_add_f32 v[2:3], v[114:115], v[2:3]
	v_mov_b32_e32 v119, v117
	v_pk_add_f32 v[18:19], v[60:61], v[18:19]
	v_pk_fma_f32 v[60:61], v[48:49], s[26:27], v[12:13] op_sel:[0,0,1] op_sel_hi:[1,0,0] neg_lo:[0,0,1] neg_hi:[0,0,1]
	v_pk_fma_f32 v[12:13], v[48:49], s[26:27], v[12:13] op_sel:[0,0,1] op_sel_hi:[1,0,0]
	v_pk_add_f32 v[2:3], v[118:119], v[2:3]
	v_mov_b32_e32 v123, v121
	v_pk_mul_f32 v[14:15], v[58:59], s[12:13] op_sel_hi:[1,0]
	v_mov_b32_e32 v62, v60
	v_mov_b32_e32 v63, v13
	v_pk_add_f32 v[2:3], v[122:123], v[2:3]
	v_mov_b32_e32 v127, v125
	v_pk_add_f32 v[18:19], v[62:63], v[18:19]
	v_pk_fma_f32 v[62:63], v[52:53], s[6:7], v[14:15] op_sel:[0,0,1] op_sel_hi:[1,0,0] neg_lo:[0,0,1] neg_hi:[0,0,1]
	v_pk_fma_f32 v[14:15], v[52:53], s[6:7], v[14:15] op_sel:[0,0,1] op_sel_hi:[1,0,0]
	v_pk_add_f32 v[2:3], v[126:127], v[2:3]
	v_mov_b32_e32 v133, v131
	v_mov_b32_e32 v64, v62
	;; [unrolled: 1-line block ×3, first 2 shown]
	v_pk_add_f32 v[2:3], v[132:133], v[2:3]
	v_pk_add_f32 v[18:19], v[64:65], v[18:19]
	ds_write2_b64 v68, v[2:3], v[18:19] offset0:4 offset1:5
	v_pk_mul_f32 v[2:3], v[44:45], s[18:19] op_sel_hi:[1,0]
	v_pk_mul_f32 v[40:41], v[40:41], s[28:29] op_sel_hi:[1,0]
	v_pk_fma_f32 v[18:19], v[42:43], s[16:17], v[2:3] op_sel:[0,0,1] op_sel_hi:[1,0,0] neg_lo:[0,0,1] neg_hi:[0,0,1]
	v_pk_fma_f32 v[2:3], v[42:43], s[16:17], v[2:3] op_sel:[0,0,1] op_sel_hi:[1,0,0]
	v_mov_b32_e32 v42, v18
	v_mov_b32_e32 v43, v3
	v_pk_fma_f32 v[44:45], v[38:39], s[26:27], v[40:41] op_sel:[0,0,1] op_sel_hi:[1,0,0] neg_lo:[0,0,1] neg_hi:[0,0,1]
	v_pk_fma_f32 v[38:39], v[38:39], s[26:27], v[40:41] op_sel:[0,0,1] op_sel_hi:[1,0,0]
	v_pk_add_f32 v[42:43], v[42:43], v[0:1]
	v_mov_b32_e32 v40, v44
	v_mov_b32_e32 v41, v39
	v_pk_mul_f32 v[36:37], v[36:37], s[30:31] op_sel_hi:[1,0]
	v_pk_add_f32 v[40:41], v[40:41], v[42:43]
	v_pk_fma_f32 v[42:43], v[34:35], s[14:15], v[36:37] op_sel:[0,0,1] op_sel_hi:[1,0,0] neg_lo:[0,0,1] neg_hi:[0,0,1]
	v_pk_fma_f32 v[34:35], v[34:35], s[14:15], v[36:37] op_sel:[0,0,1] op_sel_hi:[1,0,0]
	v_mov_b32_e32 v36, v42
	v_mov_b32_e32 v37, v35
	v_pk_mul_f32 v[30:31], v[30:31], s[36:37] op_sel_hi:[1,0]
	v_pk_add_f32 v[36:37], v[36:37], v[40:41]
	v_pk_fma_f32 v[40:41], v[24:25], s[0:1], v[30:31] op_sel:[0,0,1] op_sel_hi:[1,0,0] neg_lo:[0,0,1] neg_hi:[0,0,1]
	v_pk_fma_f32 v[24:25], v[24:25], s[0:1], v[30:31] op_sel:[0,0,1] op_sel_hi:[1,0,0]
	v_mov_b32_e32 v30, v40
	v_mov_b32_e32 v31, v25
	v_pk_add_f32 v[30:31], v[30:31], v[36:37]
	v_pk_mul_f32 v[36:37], v[50:51], s[12:13] op_sel_hi:[1,0]
	v_mov_b32_e32 v3, v19
	v_mov_b32_e32 v5, v17
	v_pk_fma_f32 v[50:51], v[48:49], s[6:7], v[36:37] op_sel:[0,0,1] op_sel_hi:[1,0,0] neg_lo:[0,0,1] neg_hi:[0,0,1]
	v_pk_fma_f32 v[36:37], v[48:49], s[6:7], v[36:37] op_sel:[0,0,1] op_sel_hi:[1,0,0]
	v_pk_add_f32 v[2:3], v[2:3], v[0:1]
	v_mov_b32_e32 v39, v45
	v_pk_add_f32 v[0:1], v[4:5], v[0:1]
	v_mov_b32_e32 v7, v21
	v_mov_b32_e32 v48, v50
	;; [unrolled: 1-line block ×3, first 2 shown]
	v_pk_add_f32 v[2:3], v[38:39], v[2:3]
	v_mov_b32_e32 v35, v43
	v_pk_add_f32 v[0:1], v[6:7], v[0:1]
	v_mov_b32_e32 v9, v23
	v_pk_add_f32 v[30:31], v[48:49], v[30:31]
	v_pk_mul_f32 v[48:49], v[58:59], s[24:25] op_sel_hi:[1,0]
	v_pk_add_f32 v[2:3], v[34:35], v[2:3]
	v_mov_b32_e32 v25, v41
	v_pk_add_f32 v[0:1], v[8:9], v[0:1]
	v_mov_b32_e32 v11, v47
	v_pk_fma_f32 v[58:59], v[52:53], s[22:23], v[48:49] op_sel:[0,0,1] op_sel_hi:[1,0,0] neg_lo:[0,0,1] neg_hi:[0,0,1]
	v_pk_fma_f32 v[48:49], v[52:53], s[22:23], v[48:49] op_sel:[0,0,1] op_sel_hi:[1,0,0]
	v_pk_add_f32 v[2:3], v[24:25], v[2:3]
	v_mov_b32_e32 v37, v51
	v_pk_add_f32 v[0:1], v[10:11], v[0:1]
	v_mov_b32_e32 v13, v61
	v_mov_b32_e32 v52, v58
	;; [unrolled: 1-line block ×3, first 2 shown]
	v_pk_add_f32 v[2:3], v[36:37], v[2:3]
	v_mov_b32_e32 v49, v59
	v_pk_add_f32 v[0:1], v[12:13], v[0:1]
	v_mov_b32_e32 v15, v63
	v_pk_add_f32 v[30:31], v[52:53], v[30:31]
	v_pk_add_f32 v[2:3], v[48:49], v[2:3]
	;; [unrolled: 1-line block ×3, first 2 shown]
	ds_write2_b64 v68, v[30:31], v[2:3] offset0:6 offset1:7
	ds_write2_b64 v68, v[0:1], v[32:33] offset0:8 offset1:9
	;; [unrolled: 1-line block ×3, first 2 shown]
	ds_write_b64 v68, v[56:57] offset:96
.LBB0_7:
	s_or_b64 exec, exec, s[34:35]
	s_movk_i32 s0, 0x4f
	v_mul_lo_u16_sdwa v0, v172, s0 dst_sel:DWORD dst_unused:UNUSED_PAD src0_sel:BYTE_0 src1_sel:DWORD
	v_lshrrev_b16_e32 v30, 10, v0
	v_mul_lo_u16_e32 v0, 13, v30
	v_sub_u16_e32 v0, v172, v0
	v_and_b32_e32 v46, 0xff, v0
	v_lshlrev_b32_e32 v16, 6, v46
	s_load_dwordx4 s[4:7], s[4:5], 0x0
	s_waitcnt lgkmcnt(0)
	; wave barrier
	s_waitcnt lgkmcnt(0)
	global_load_dwordx4 v[0:3], v16, s[10:11] offset:48
	global_load_dwordx4 v[12:15], v16, s[10:11]
	global_load_dwordx4 v[8:11], v16, s[10:11] offset:16
	global_load_dwordx4 v[4:7], v16, s[10:11] offset:32
	v_add_u32_e32 v63, 0x800, v55
	ds_read2_b64 v[16:19], v55 offset1:52
	ds_read2_b64 v[20:23], v55 offset0:104 offset1:156
	ds_read_b64 v[24:25], v55 offset:3328
	v_add_u32_e32 v74, 0x400, v55
	ds_read2_b64 v[34:37], v63 offset0:56 offset1:108
	ds_read2_b64 v[38:41], v74 offset0:80 offset1:132
	v_mul_u32_u24_e32 v48, 0x75, v30
	s_waitcnt lgkmcnt(3)
	v_mov_b32_e32 v43, v21
	v_mov_b32_e32 v44, v21
	;; [unrolled: 1-line block ×6, first 2 shown]
	s_waitcnt lgkmcnt(2)
	v_mov_b32_e32 v49, v25
	v_mov_b32_e32 v50, v25
	v_add_lshl_u32 v173, v48, v46, 3
	s_waitcnt lgkmcnt(1)
	v_mov_b32_e32 v48, v37
	v_mov_b32_e32 v25, v37
	;; [unrolled: 1-line block ×6, first 2 shown]
	s_mov_b32 s0, 0x3f248dbb
	s_mov_b32 s1, 0x3f7c1c5c
	;; [unrolled: 1-line block ×8, first 2 shown]
	s_waitcnt lgkmcnt(0)
	; wave barrier
	s_waitcnt lgkmcnt(0)
	s_mov_b32 s22, s1
	s_waitcnt vmcnt(3)
	v_mov_b32_e32 v58, v3
	s_waitcnt vmcnt(2)
	v_mov_b32_e32 v64, v15
	v_mov_b32_e32 v65, v13
	s_waitcnt vmcnt(0)
	v_pk_mul_f32 v[70:71], v[40:41], v[4:5] op_sel:[0,1]
	v_mov_b32_e32 v72, v12
	v_mov_b32_e32 v15, v12
	;; [unrolled: 1-line block ×4, first 2 shown]
	v_pk_fma_f32 v[84:85], v[40:41], v[4:5], v[70:71] op_sel:[0,0,1] op_sel_hi:[1,1,0] neg_lo:[0,0,1] neg_hi:[0,0,1]
	v_pk_fma_f32 v[40:41], v[40:41], v[4:5], v[70:71] op_sel:[0,0,1] op_sel_hi:[1,0,0]
	v_mov_b32_e32 v73, v64
	v_pk_mul_f32 v[20:21], v[20:21], v[64:65]
	v_mov_b32_e32 v77, v58
	v_mov_b32_e32 v66, v13
	;; [unrolled: 1-line block ×6, first 2 shown]
	v_pk_mul_f32 v[24:25], v[24:25], v[58:59]
	v_mov_b32_e32 v85, v41
	v_pk_mul_f32 v[40:41], v[42:43], v[72:73]
	v_pk_fma_f32 v[42:43], v[44:45], v[14:15], v[20:21] op_sel_hi:[1,0,1]
	v_pk_fma_f32 v[14:15], v[44:45], v[14:15], v[20:21] neg_lo:[0,0,1] neg_hi:[0,0,1]
	v_pk_mul_f32 v[20:21], v[48:49], v[76:77]
	v_mov_b32_e32 v62, v11
	v_mul_f32_e32 v52, v23, v9
	v_mul_f32_e32 v68, v35, v7
	v_pk_fma_f32 v[44:45], v[50:51], v[2:3], v[24:25] op_sel_hi:[1,0,1]
	v_pk_fma_f32 v[2:3], v[50:51], v[2:3], v[24:25] neg_lo:[0,0,1] neg_hi:[0,0,1]
	v_pk_fma_f32 v[24:25], v[30:31], v[66:67], v[40:41] neg_lo:[0,0,1] neg_hi:[0,0,1]
	v_pk_fma_f32 v[30:31], v[36:37], v[60:61], v[20:21]
	v_pk_fma_f32 v[20:21], v[46:47], v[60:61], v[20:21] neg_lo:[0,0,1] neg_hi:[0,0,1]
	v_mul_f32_e32 v23, v23, v8
	v_mul_f32_e32 v53, v22, v9
	;; [unrolled: 1-line block ×4, first 2 shown]
	v_fma_f32 v79, v22, v8, -v52
	v_fma_f32 v81, v34, v6, -v68
	v_pk_mul_f32 v[82:83], v[38:39], v[62:63] op_sel_hi:[1,0]
	v_pk_fma_f32 v[18:19], v[18:19], v[66:67], v[40:41]
	v_mov_b32_e32 v43, v15
	v_mov_b32_e32 v34, v15
	;; [unrolled: 1-line block ×6, first 2 shown]
	v_pk_fma_f32 v[70:71], v[38:39], v[10:11], v[82:83] op_sel:[0,0,1] op_sel_hi:[1,1,0] neg_lo:[0,0,1] neg_hi:[0,0,1]
	v_pk_fma_f32 v[38:39], v[38:39], v[10:11], v[82:83] op_sel:[0,0,1] op_sel_hi:[1,0,0]
	v_mov_b32_e32 v45, v3
	v_mov_b32_e32 v19, v25
	v_pk_add_f32 v[36:37], v[42:43], v[30:31]
	v_pk_add_f32 v[30:31], v[42:43], v[30:31] neg_lo:[0,1] neg_hi:[0,1]
	v_pk_add_f32 v[20:21], v[34:35], v[68:69]
	v_pk_add_f32 v[2:3], v[22:23], v[52:53]
	v_mov_b32_e32 v71, v39
	v_pk_add_f32 v[14:15], v[18:19], v[44:45]
	v_pk_add_f32 v[18:19], v[18:19], v[44:45] neg_lo:[0,1] neg_hi:[0,1]
	v_pk_mul_f32 v[38:39], v[30:31], s[12:13]
	v_mov_b32_e32 v78, v3
	v_mov_b32_e32 v80, v21
	v_pk_fma_f32 v[38:39], v[18:19], s[0:1], v[38:39]
	v_pk_add_f32 v[22:23], v[78:79], v[80:81] neg_lo:[0,1] neg_hi:[0,1]
	s_mov_b32 s12, 0x3f5db3d7
	v_pk_add_f32 v[34:35], v[70:71], v[84:85] neg_lo:[0,1] neg_hi:[0,1]
	v_pk_fma_f32 v[24:25], v[22:23], s[12:13], v[38:39] op_sel_hi:[1,0,1]
	v_pk_mul_f32 v[38:39], v[34:35], s[14:15] op_sel_hi:[1,0]
	v_mov_b32_e32 v43, v36
	v_pk_add_f32 v[24:25], v[38:39], v[24:25] op_sel:[1,0] op_sel_hi:[0,1]
	v_mov_b32_e32 v38, v20
	v_mov_b32_e32 v39, v14
	;; [unrolled: 1-line block ×6, first 2 shown]
	v_pk_fma_f32 v[40:41], v[38:39], s[16:17], v[16:17] op_sel_hi:[1,0,1]
	v_mov_b32_e32 v42, v2
	v_pk_add_f32 v[14:15], v[44:45], v[36:37]
	v_pk_add_f32 v[2:3], v[2:3], v[20:21]
	v_pk_fma_f32 v[40:41], v[42:43], s[18:19], v[40:41] op_sel_hi:[1,0,1]
	v_mov_b32_e32 v20, v14
	v_mov_b32_e32 v21, v3
	v_pk_fma_f32 v[36:37], v[20:21], 0.5, v[40:41] op_sel_hi:[1,0,1] neg_lo:[1,0,0] neg_hi:[1,0,0]
	v_pk_add_f32 v[40:41], v[70:71], v[84:85]
	v_pk_add_f32 v[46:47], v[2:3], v[14:15]
	v_pk_fma_f32 v[36:37], v[40:41], s[20:21], v[36:37] op_sel_hi:[1,0,1] neg_lo:[1,0,0] neg_hi:[1,0,0]
	v_pk_add_f32 v[46:47], v[70:71], v[46:47]
	v_pk_add_f32 v[44:45], v[36:37], v[24:25]
	v_pk_add_f32 v[36:37], v[36:37], v[24:25] neg_lo:[0,1] neg_hi:[0,1]
	v_pk_add_f32 v[46:47], v[84:85], v[46:47]
	v_mov_b32_e32 v45, v37
	v_pk_add_f32 v[46:47], v[46:47], v[16:17]
	ds_write2_b64 v173, v[46:47], v[44:45] offset1:13
	v_mov_b32_e32 v46, v18
	v_mov_b32_e32 v47, v31
	v_pk_mul_f32 v[50:51], v[34:35], s[0:1] op_sel_hi:[1,0]
	v_pk_fma_f32 v[52:53], v[40:41], s[16:17], v[16:17] op_sel_hi:[1,0,1]
	v_pk_fma_f32 v[50:51], v[46:47], s[22:23], v[50:51] op_sel:[0,0,1] op_sel_hi:[1,0,0] neg_lo:[0,0,1] neg_hi:[0,0,1]
	v_pk_fma_f32 v[52:53], v[38:39], s[18:19], v[52:53] op_sel_hi:[1,0,1]
	v_mov_b32_e32 v48, v30
	v_mov_b32_e32 v49, v19
	v_pk_fma_f32 v[50:51], v[22:23], s[12:13], v[50:51] op_sel_hi:[1,0,1] neg_lo:[1,0,0] neg_hi:[1,0,0]
	v_pk_fma_f32 v[52:53], v[20:21], 0.5, v[52:53] op_sel_hi:[1,0,1] neg_lo:[1,0,0] neg_hi:[1,0,0]
	v_pk_fma_f32 v[50:51], v[48:49], s[14:15], v[50:51] op_sel_hi:[1,0,1]
	v_pk_fma_f32 v[52:53], v[42:43], s[20:21], v[52:53] op_sel_hi:[1,0,1] neg_lo:[1,0,0] neg_hi:[1,0,0]
	v_mov_b32_e32 v3, v15
	v_pk_add_f32 v[68:69], v[52:53], v[50:51]
	v_pk_add_f32 v[52:53], v[52:53], v[50:51] neg_lo:[0,1] neg_hi:[0,1]
	v_pk_add_f32 v[2:3], v[40:41], v[2:3]
	v_fma_f32 v52, -2.0, v50, v68
	v_mov_b32_e32 v69, v53
	v_fmac_f32_e32 v53, 2.0, v51
	v_mov_b32_e32 v50, v31
	v_mov_b32_e32 v51, v18
	v_pk_add_f32 v[50:51], v[34:35], v[50:51]
	v_mov_b32_e32 v18, v19
	v_mov_b32_e32 v19, v30
	v_pk_add_f32 v[18:19], v[50:51], v[18:19] neg_lo:[0,1] neg_hi:[0,1]
	v_pk_add_f32 v[30:31], v[20:21], v[16:17]
	v_pk_mul_f32 v[18:19], v[18:19], s[12:13] op_sel_hi:[1,0]
	v_pk_fma_f32 v[2:3], v[2:3], 0.5, v[30:31] op_sel_hi:[1,0,1] neg_lo:[1,0,0] neg_hi:[1,0,0]
	s_mov_b32 s0, 0xbf248dbb
	v_pk_add_f32 v[14:15], v[2:3], v[18:19] op_sel:[0,1] op_sel_hi:[1,0]
	v_pk_add_f32 v[2:3], v[2:3], v[18:19] op_sel:[0,1] op_sel_hi:[1,0] neg_lo:[0,1] neg_hi:[0,1]
	v_pk_fma_f32 v[16:17], v[42:43], s[16:17], v[16:17] op_sel_hi:[1,0,1]
	v_mov_b32_e32 v15, v3
	v_fma_f32 v2, -2.0, v19, v14
	ds_write2_b64 v173, v[68:69], v[14:15] offset0:26 offset1:39
	v_pk_mul_f32 v[14:15], v[34:35], s[22:23] op_sel_hi:[1,0]
	v_pk_fma_f32 v[16:17], v[40:41], s[18:19], v[16:17] op_sel_hi:[1,0,1]
	v_pk_fma_f32 v[14:15], v[48:49], s[0:1], v[14:15] op_sel:[0,0,1] op_sel_hi:[1,0,0] neg_lo:[0,0,1] neg_hi:[0,0,1]
	v_pk_fma_f32 v[16:17], v[20:21], 0.5, v[16:17] op_sel_hi:[1,0,1] neg_lo:[1,0,0] neg_hi:[1,0,0]
	v_pk_fma_f32 v[14:15], v[22:23], s[12:13], v[14:15] op_sel_hi:[1,0,1]
	v_pk_fma_f32 v[16:17], v[38:39], s[20:21], v[16:17] op_sel_hi:[1,0,1] neg_lo:[1,0,0] neg_hi:[1,0,0]
	v_pk_fma_f32 v[14:15], v[46:47], s[14:15], v[14:15] op_sel_hi:[1,0,1]
	v_fmac_f32_e32 v3, 2.0, v18
	v_pk_add_f32 v[18:19], v[16:17], v[14:15]
	v_pk_add_f32 v[16:17], v[16:17], v[14:15] neg_lo:[0,1] neg_hi:[0,1]
	v_add_f32_e32 v24, v24, v24
	v_add_f32_e32 v37, v25, v25
	v_fma_f32 v16, -2.0, v14, v18
	v_mov_b32_e32 v19, v17
	v_fmac_f32_e32 v17, 2.0, v15
	v_mov_b32_e32 v36, v44
	v_mov_b32_e32 v25, v45
	ds_write2_b64 v173, v[18:19], v[16:17] offset0:52 offset1:65
	ds_write2_b64 v173, v[2:3], v[52:53] offset0:78 offset1:91
	v_pk_add_f32 v[30:31], v[44:45], v[24:25] neg_lo:[0,1] neg_hi:[0,1]
	v_pk_add_f32 v[2:3], v[36:37], v[44:45]
	v_cmp_gt_u16_e64 s[0:1], 13, v172
	v_mov_b32_e32 v31, v3
	ds_write_b64 v173, v[30:31] offset:832
	s_waitcnt lgkmcnt(0)
	; wave barrier
	s_waitcnt lgkmcnt(0)
	ds_read2_b64 v[36:39], v55 offset1:52
	ds_read2_b64 v[48:51], v55 offset0:117 offset1:169
	ds_read2_b64 v[40:43], v74 offset0:106 offset1:158
	;; [unrolled: 1-line block ×3, first 2 shown]
	s_and_saveexec_b64 s[12:13], s[0:1]
	s_cbranch_execz .LBB0_9
; %bb.8:
	ds_read2_b64 v[30:33], v55 offset0:104 offset1:221
	ds_read2_b64 v[26:29], v63 offset0:82 offset1:199
	s_waitcnt lgkmcnt(1)
	v_mov_b32_e32 v3, v31
.LBB0_9:
	s_or_b64 exec, exec, s[12:13]
	v_add_u32_e32 v2, 0x68, v172
	v_add_u32_e32 v11, -13, v172
	v_mad_u64_u32 v[14:15], s[12:13], v172, 24, s[10:11]
	v_cndmask_b32_e64 v2, v11, v2, s[0:1]
	global_load_dwordx4 v[18:21], v[14:15], off offset:832
	global_load_dwordx2 v[70:71], v[14:15], off offset:848
	global_load_dwordx4 v[22:25], v[14:15], off offset:2080
	global_load_dwordx2 v[72:73], v[14:15], off offset:2096
	v_mul_hi_i32_i24_e32 v15, 24, v2
	v_mul_i32_i24_e32 v14, 24, v2
	v_lshl_add_u64 v[34:35], s[10:11], 0, v[14:15]
	global_load_dwordx4 v[14:17], v[34:35], off offset:832
	global_load_dwordx2 v[68:69], v[34:35], off offset:848
	v_mov_b32_e32 v31, v3
	s_waitcnt vmcnt(5)
	v_mov_b32_e32 v2, v19
	s_waitcnt lgkmcnt(2)
	v_pk_mul_f32 v[34:35], v[48:49], v[18:19] op_sel:[1,0] op_sel_hi:[0,1]
	v_mov_b32_e32 v52, v21
	s_waitcnt lgkmcnt(1)
	v_pk_mul_f32 v[76:77], v[40:41], v[20:21] op_sel:[1,0] op_sel_hi:[0,1]
	s_waitcnt vmcnt(4)
	v_mov_b32_e32 v78, v71
	s_waitcnt lgkmcnt(0)
	v_pk_mul_f32 v[80:81], v[44:45], v[70:71] op_sel:[1,0] op_sel_hi:[0,1]
	s_waitcnt vmcnt(3)
	v_pk_mul_f32 v[82:83], v[50:51], v[22:23] op_sel:[0,1]
	v_mov_b32_e32 v84, v25
	s_waitcnt vmcnt(2)
	v_pk_mul_f32 v[86:87], v[46:47], v[72:73] op_sel:[0,1]
	v_pk_mul_f32 v[2:3], v[48:49], v[2:3] op_sel:[1,0] op_sel_hi:[0,1]
	v_mov_b32_e32 v11, v34
	v_pk_mul_f32 v[34:35], v[40:41], v[52:53] op_sel:[1,0] op_sel_hi:[0,1]
	v_mov_b32_e32 v53, v76
	;; [unrolled: 2-line block ×3, first 2 shown]
	v_pk_fma_f32 v[78:79], v[50:51], v[22:23], v[82:83] op_sel:[1,0,0] op_sel_hi:[0,1,1]
	v_pk_fma_f32 v[50:51], v[50:51], v[22:23], v[82:83] op_sel:[1,0,0] op_sel_hi:[0,0,1] neg_lo:[0,0,1] neg_hi:[0,0,1]
	v_pk_mul_f32 v[80:81], v[42:43], v[84:85] op_sel_hi:[1,0]
	v_pk_fma_f32 v[82:83], v[46:47], v[72:73], v[86:87] op_sel:[1,0,0] op_sel_hi:[0,1,1]
	v_pk_fma_f32 v[46:47], v[46:47], v[72:73], v[86:87] op_sel:[1,0,0] op_sel_hi:[0,0,1] neg_lo:[0,0,1] neg_hi:[0,0,1]
	v_pk_fma_f32 v[2:3], v[48:49], v[18:19], v[2:3] neg_lo:[0,0,1] neg_hi:[0,0,1]
	v_pk_fma_f32 v[48:49], v[48:49], v[18:19], v[10:11] op_sel:[1,0,0] op_sel_hi:[0,1,1]
	v_pk_fma_f32 v[34:35], v[40:41], v[20:21], v[34:35] neg_lo:[0,0,1] neg_hi:[0,0,1]
	v_pk_fma_f32 v[40:41], v[40:41], v[20:21], v[52:53] op_sel:[1,0,0] op_sel_hi:[0,1,1]
	v_pk_fma_f32 v[52:53], v[44:45], v[70:71], v[76:77] neg_lo:[0,0,1] neg_hi:[0,0,1]
	v_pk_fma_f32 v[44:45], v[44:45], v[70:71], v[58:59] op_sel:[1,0,0] op_sel_hi:[0,1,1]
	v_mov_b32_e32 v79, v51
	v_pk_fma_f32 v[50:51], v[42:43], v[24:25], v[80:81] op_sel:[0,0,1] op_sel_hi:[1,1,0] neg_lo:[0,0,1] neg_hi:[0,0,1]
	v_pk_fma_f32 v[42:43], v[42:43], v[24:25], v[80:81] op_sel:[0,0,1] op_sel_hi:[1,0,0]
	v_mov_b32_e32 v83, v47
	v_mov_b32_e32 v35, v41
	;; [unrolled: 1-line block ×5, first 2 shown]
	s_waitcnt vmcnt(1)
	v_pk_mul_f32 v[40:41], v[32:33], v[14:15] op_sel_hi:[0,1]
	v_pk_mul_f32 v[42:43], v[26:27], v[16:17] op_sel:[1,0]
	s_waitcnt vmcnt(0)
	v_pk_mul_f32 v[44:45], v[28:29], v[68:69] op_sel_hi:[0,1]
	v_pk_add_f32 v[46:47], v[78:79], v[82:83] neg_lo:[0,1] neg_hi:[0,1]
	v_pk_add_f32 v[48:49], v[36:37], v[34:35] neg_lo:[0,1] neg_hi:[0,1]
	;; [unrolled: 1-line block ×3, first 2 shown]
	v_pk_fma_f32 v[52:53], v[32:33], v[14:15], v[40:41] op_sel:[1,0,1] op_sel_hi:[1,1,0]
	v_pk_fma_f32 v[32:33], v[32:33], v[14:15], v[40:41] op_sel:[1,0,1] op_sel_hi:[1,1,0] neg_lo:[1,0,0] neg_hi:[1,0,0]
	v_pk_fma_f32 v[76:77], v[26:27], v[16:17], v[42:43] op_sel:[0,0,1] op_sel_hi:[1,1,0] neg_lo:[0,0,1] neg_hi:[0,0,1]
	v_pk_fma_f32 v[26:27], v[26:27], v[16:17], v[42:43] op_sel:[0,0,1] op_sel_hi:[0,1,0]
	v_pk_fma_f32 v[42:43], v[28:29], v[68:69], v[44:45] op_sel:[1,0,1] op_sel_hi:[1,1,0]
	v_pk_fma_f32 v[28:29], v[28:29], v[68:69], v[44:45] op_sel:[1,0,1] op_sel_hi:[1,1,0] neg_lo:[1,0,0] neg_hi:[1,0,0]
	v_pk_add_f32 v[44:45], v[38:39], v[50:51] neg_lo:[0,1] neg_hi:[0,1]
	v_pk_fma_f32 v[50:51], v[78:79], 2.0, v[46:47] op_sel_hi:[1,0,1] neg_lo:[0,0,1] neg_hi:[0,0,1]
	v_pk_fma_f32 v[78:79], v[36:37], 2.0, v[48:49] op_sel_hi:[1,0,1] neg_lo:[0,0,1] neg_hi:[0,0,1]
	;; [unrolled: 1-line block ×3, first 2 shown]
	v_pk_add_f32 v[36:37], v[48:49], v[34:35] op_sel:[0,1] op_sel_hi:[1,0] neg_lo:[0,1] neg_hi:[0,1]
	v_pk_add_f32 v[80:81], v[48:49], v[34:35] op_sel:[0,1] op_sel_hi:[1,0]
	v_mov_b32_e32 v53, v33
	v_mov_b32_e32 v77, v27
	;; [unrolled: 1-line block ×3, first 2 shown]
	v_pk_fma_f32 v[32:33], v[38:39], 2.0, v[44:45] op_sel_hi:[1,0,1] neg_lo:[0,0,1] neg_hi:[0,0,1]
	v_pk_add_f32 v[40:41], v[44:45], v[46:47] neg_lo:[0,1] neg_hi:[0,1]
	v_pk_add_f32 v[26:27], v[44:45], v[46:47]
	v_pk_add_f32 v[34:35], v[78:79], v[2:3] neg_lo:[0,1] neg_hi:[0,1]
	v_mov_b32_e32 v37, v81
	v_pk_add_f32 v[38:39], v[32:33], v[50:51] op_sel:[0,1] op_sel_hi:[1,0] neg_lo:[0,1] neg_hi:[0,1]
	v_pk_add_f32 v[2:3], v[30:31], v[76:77] neg_lo:[0,1] neg_hi:[0,1]
	v_pk_add_f32 v[46:47], v[52:53], v[42:43] neg_lo:[0,1] neg_hi:[0,1]
	v_pk_fma_f32 v[28:29], v[48:49], 2.0, v[36:37] op_sel_hi:[1,0,1] neg_lo:[0,0,1] neg_hi:[0,0,1]
	v_pk_fma_f32 v[42:43], v[32:33], 2.0, v[38:39] op_sel_hi:[1,0,1] neg_lo:[0,0,1] neg_hi:[0,0,1]
	;; [unrolled: 1-line block ×4, first 2 shown]
	v_pk_add_f32 v[48:49], v[2:3], v[46:47] neg_lo:[0,1] neg_hi:[0,1]
	v_pk_add_f32 v[50:51], v[2:3], v[46:47]
	v_mov_b32_e32 v41, v27
	v_pk_add_f32 v[46:47], v[30:31], v[32:33] op_sel:[0,1] op_sel_hi:[1,0] neg_lo:[0,1] neg_hi:[0,1]
	v_mov_b32_e32 v49, v51
	v_pk_fma_f32 v[26:27], v[78:79], 2.0, v[34:35] op_sel_hi:[1,0,1] neg_lo:[0,0,1] neg_hi:[0,0,1]
	v_pk_fma_f32 v[44:45], v[44:45], 2.0, v[40:41] op_sel_hi:[1,0,1] neg_lo:[0,0,1] neg_hi:[0,0,1]
	;; [unrolled: 1-line block ×4, first 2 shown]
	ds_write2_b64 v55, v[26:27], v[42:43] offset1:52
	ds_write2_b64 v55, v[28:29], v[44:45] offset0:117 offset1:169
	ds_write2_b64 v74, v[34:35], v[38:39] offset0:106 offset1:158
	;; [unrolled: 1-line block ×3, first 2 shown]
	s_and_saveexec_b64 s[10:11], s[0:1]
	s_cbranch_execz .LBB0_11
; %bb.10:
	v_add_u32_e32 v2, 0x800, v55
	ds_write2_b64 v55, v[50:51], v[52:53] offset0:104 offset1:221
	ds_write2_b64 v2, v[46:47], v[48:49] offset0:82 offset1:199
.LBB0_11:
	s_or_b64 exec, exec, s[10:11]
	s_waitcnt lgkmcnt(0)
	; wave barrier
	s_waitcnt lgkmcnt(0)
	s_and_saveexec_b64 s[10:11], vcc
	s_cbranch_execz .LBB0_13
; %bb.12:
	global_load_dwordx2 v[2:3], v55, s[2:3] offset:3744
	s_add_u32 s12, s2, 0xea0
	s_addc_u32 s13, s3, 0
	global_load_dwordx2 v[94:95], v55, s[12:13] offset:288
	global_load_dwordx2 v[96:97], v55, s[12:13] offset:576
	;; [unrolled: 1-line block ×12, first 2 shown]
	ds_read_b64 v[30:31], v55
	v_add_u32_e32 v11, 0x400, v55
	v_add_u32_e32 v59, 0x800, v55
	s_waitcnt vmcnt(12) lgkmcnt(0)
	v_mul_f32_e32 v32, v31, v3
	v_mul_f32_e32 v33, v30, v3
	v_fma_f32 v32, v30, v2, -v32
	v_fmac_f32_e32 v33, v31, v2
	ds_write_b64 v55, v[32:33]
	ds_read2_b64 v[30:33], v55 offset0:36 offset1:72
	ds_read2_b64 v[74:77], v55 offset0:108 offset1:144
	;; [unrolled: 1-line block ×6, first 2 shown]
	s_waitcnt vmcnt(11) lgkmcnt(5)
	v_mul_f32_e32 v2, v31, v95
	v_mul_f32_e32 v3, v30, v95
	s_waitcnt vmcnt(10)
	v_mul_f32_e32 v63, v33, v97
	v_mul_f32_e32 v95, v32, v97
	s_waitcnt vmcnt(9) lgkmcnt(4)
	v_mul_f32_e32 v65, v75, v99
	v_mul_f32_e32 v97, v74, v99
	s_waitcnt vmcnt(8)
	v_mul_f32_e32 v118, v77, v101
	v_mul_f32_e32 v99, v76, v101
	;; [unrolled: 6-line block ×6, first 2 shown]
	v_fma_f32 v2, v30, v94, -v2
	v_fmac_f32_e32 v3, v31, v94
	v_fma_f32 v94, v32, v96, -v63
	v_fmac_f32_e32 v95, v33, v96
	;; [unrolled: 2-line block ×12, first 2 shown]
	ds_write2_b64 v55, v[2:3], v[94:95] offset0:36 offset1:72
	ds_write2_b64 v55, v[96:97], v[98:99] offset0:108 offset1:144
	ds_write2_b64 v55, v[100:101], v[102:103] offset0:180 offset1:216
	ds_write2_b64 v11, v[104:105], v[106:107] offset0:124 offset1:160
	ds_write2_b64 v59, v[108:109], v[110:111] offset0:68 offset1:104
	ds_write2_b64 v59, v[112:113], v[114:115] offset0:140 offset1:176
.LBB0_13:
	s_or_b64 exec, exec, s[10:11]
	s_waitcnt lgkmcnt(0)
	; wave barrier
	s_waitcnt lgkmcnt(0)
	s_and_saveexec_b64 s[10:11], vcc
	s_cbranch_execz .LBB0_15
; %bb.14:
	ds_read2_b64 v[26:29], v55 offset1:36
	ds_read2_b64 v[34:37], v55 offset0:72 offset1:108
	ds_read2_b64 v[42:45], v55 offset0:144 offset1:180
	;; [unrolled: 1-line block ×3, first 2 shown]
	v_add_u32_e32 v2, 0x800, v55
	ds_read2_b64 v[50:53], v2 offset0:32 offset1:68
	ds_read2_b64 v[46:49], v2 offset0:104 offset1:140
	ds_read_b64 v[56:57], v55 offset:3456
.LBB0_15:
	s_or_b64 exec, exec, s[10:11]
	s_waitcnt lgkmcnt(0)
	v_pk_add_f32 v[2:3], v[28:29], v[56:57] neg_lo:[0,1] neg_hi:[0,1]
	v_pk_add_f32 v[98:99], v[28:29], v[56:57]
	v_mov_b32_e32 v75, v2
	v_mov_b32_e32 v74, v98
	v_mov_b32_e32 v98, v3
	v_pk_add_f32 v[2:3], v[34:35], v[48:49] neg_lo:[0,1] neg_hi:[0,1]
	v_pk_add_f32 v[96:97], v[34:35], v[48:49]
	v_mov_b32_e32 v77, v2
	v_mov_b32_e32 v76, v96
	v_mov_b32_e32 v96, v3
	v_pk_add_f32 v[2:3], v[36:37], v[46:47] neg_lo:[0,1] neg_hi:[0,1]
	v_pk_add_f32 v[94:95], v[36:37], v[46:47]
	v_mov_b32_e32 v79, v2
	v_mov_b32_e32 v78, v94
	v_mov_b32_e32 v94, v3
	v_pk_add_f32 v[2:3], v[42:43], v[52:53] neg_lo:[0,1] neg_hi:[0,1]
	v_pk_add_f32 v[92:93], v[42:43], v[52:53]
	s_mov_b32 s30, 0xbf52af12
	v_mov_b32_e32 v80, v92
	v_mov_b32_e32 v81, v2
	;; [unrolled: 1-line block ×3, first 2 shown]
	v_pk_add_f32 v[2:3], v[44:45], v[50:51] neg_lo:[0,1] neg_hi:[0,1]
	v_pk_add_f32 v[90:91], v[44:45], v[50:51]
	s_mov_b32 s31, 0x3f116cb1
	s_mov_b32 s22, 0xbf6f5d39
	v_mov_b32_e32 v82, v90
	v_mov_b32_e32 v83, v2
	;; [unrolled: 1-line block ×3, first 2 shown]
	v_pk_add_f32 v[2:3], v[38:39], v[40:41] neg_lo:[0,1] neg_hi:[0,1]
	v_pk_add_f32 v[88:89], v[38:39], v[40:41]
	v_pk_mul_f32 v[102:103], v[98:99], s[30:31]
	s_mov_b32 s10, s31
	s_mov_b32 s11, s30
	;; [unrolled: 1-line block ×3, first 2 shown]
	v_mov_b32_e32 v84, v88
	v_mov_b32_e32 v85, v2
	;; [unrolled: 1-line block ×3, first 2 shown]
	v_pk_fma_f32 v[2:3], v[74:75], s[10:11], v[102:103] neg_lo:[0,0,1] neg_hi:[0,0,1]
	v_pk_fma_f32 v[100:101], v[74:75], s[10:11], v[102:103]
	v_pk_mul_f32 v[106:107], v[96:97], s[22:23]
	s_mov_b32 s12, s23
	s_mov_b32 s13, s22
	;; [unrolled: 1-line block ×3, first 2 shown]
	v_mov_b32_e32 v3, v101
	v_pk_fma_f32 v[30:31], v[76:77], s[12:13], v[106:107] neg_lo:[0,0,1] neg_hi:[0,0,1]
	v_pk_fma_f32 v[104:105], v[76:77], s[12:13], v[106:107]
	s_mov_b32 s29, 0xbf788fa5
	v_pk_add_f32 v[2:3], v[26:27], v[2:3]
	v_mov_b32_e32 v31, v105
	v_pk_mul_f32 v[108:109], v[94:95], s[28:29]
	s_mov_b32 s14, s29
	s_mov_b32 s15, s28
	s_mov_b32 s34, 0x3f29c268
	v_pk_add_f32 v[2:3], v[30:31], v[2:3]
	v_pk_fma_f32 v[30:31], v[78:79], s[14:15], v[108:109] neg_lo:[0,0,1] neg_hi:[0,0,1]
	v_pk_fma_f32 v[110:111], v[78:79], s[14:15], v[108:109]
	s_mov_b32 s35, 0xbf3f9e67
	v_mov_b32_e32 v31, v111
	v_pk_mul_f32 v[112:113], v[92:93], s[34:35]
	s_mov_b32 s48, s35
	s_mov_b32 s49, s34
	s_mov_b32 s26, 0x3f7e222b
	v_pk_add_f32 v[2:3], v[30:31], v[2:3]
	v_pk_fma_f32 v[30:31], v[80:81], s[48:49], v[112:113] neg_lo:[0,0,1] neg_hi:[0,0,1]
	v_pk_fma_f32 v[114:115], v[80:81], s[48:49], v[112:113]
	s_mov_b32 s27, 0x3df6dbef
	;; [unrolled: 9-line block ×3, first 2 shown]
	v_mov_b32_e32 v31, v119
	v_pk_mul_f32 v[120:121], v[88:89], s[36:37]
	s_mov_b32 s20, s37
	s_mov_b32 s21, s36
	v_pk_add_f32 v[2:3], v[30:31], v[2:3]
	v_pk_fma_f32 v[30:31], v[84:85], s[20:21], v[120:121] neg_lo:[0,0,1] neg_hi:[0,0,1]
	v_pk_fma_f32 v[122:123], v[84:85], s[20:21], v[120:121]
	s_mov_b32 s52, 0xbf7e222b
	s_mov_b32 s53, s27
	v_mov_b32_e32 v31, v123
	v_pk_mul_f32 v[124:125], v[98:99], s[52:53]
	s_mov_b32 s16, s27
	s_mov_b32 s17, s52
	v_pk_add_f32 v[32:33], v[30:31], v[2:3]
	v_pk_fma_f32 v[2:3], v[74:75], s[16:17], v[124:125] neg_lo:[0,0,1] neg_hi:[0,0,1]
	v_pk_fma_f32 v[126:127], v[74:75], s[16:17], v[124:125]
	v_pk_mul_f32 v[130:131], v[96:97], s[28:29]
	v_mov_b32_e32 v3, v127
	v_pk_fma_f32 v[30:31], v[76:77], s[14:15], v[130:131] neg_lo:[0,0,1] neg_hi:[0,0,1]
	v_pk_fma_f32 v[128:129], v[76:77], s[14:15], v[130:131]
	s_mov_b32 s24, 0x3f6f5d39
	s_mov_b32 s25, s23
	v_pk_add_f32 v[2:3], v[26:27], v[2:3]
	v_mov_b32_e32 v31, v129
	v_pk_mul_f32 v[132:133], v[94:95], s[24:25]
	s_mov_b32 s42, s23
	s_mov_b32 s43, s24
	v_pk_add_f32 v[2:3], v[30:31], v[2:3]
	v_pk_fma_f32 v[30:31], v[78:79], s[42:43], v[132:133] neg_lo:[0,0,1] neg_hi:[0,0,1]
	v_pk_fma_f32 v[134:135], v[78:79], s[42:43], v[132:133]
	v_pk_mul_f32 v[138:139], v[92:93], s[36:37]
	v_mov_b32_e32 v31, v135
	v_pk_add_f32 v[2:3], v[30:31], v[2:3]
	v_pk_fma_f32 v[30:31], v[80:81], s[20:21], v[138:139] neg_lo:[0,0,1] neg_hi:[0,0,1]
	v_pk_fma_f32 v[136:137], v[80:81], s[20:21], v[138:139]
	v_pk_mul_f32 v[142:143], v[90:91], s[30:31]
	v_mov_b32_e32 v31, v137
	v_pk_add_f32 v[2:3], v[30:31], v[2:3]
	v_pk_fma_f32 v[30:31], v[82:83], s[10:11], v[142:143] neg_lo:[0,0,1] neg_hi:[0,0,1]
	v_pk_fma_f32 v[140:141], v[82:83], s[10:11], v[142:143]
	s_mov_b32 s40, 0xbf29c268
	s_mov_b32 s41, s35
	v_mov_b32_e32 v31, v141
	v_pk_mul_f32 v[152:153], v[88:89], s[40:41]
	s_mov_b32 s24, s35
	s_mov_b32 s25, s40
	v_pk_add_f32 v[2:3], v[30:31], v[2:3]
	v_pk_fma_f32 v[30:31], v[84:85], s[24:25], v[152:153] neg_lo:[0,0,1] neg_hi:[0,0,1]
	v_pk_fma_f32 v[158:159], v[84:85], s[24:25], v[152:153]
	v_pk_mul_f32 v[146:147], v[98:99], s[22:23]
	v_mov_b32_e32 v31, v159
	v_pk_add_f32 v[30:31], v[30:31], v[2:3]
	v_pk_fma_f32 v[2:3], v[74:75], s[12:13], v[146:147] neg_lo:[0,0,1] neg_hi:[0,0,1]
	v_pk_fma_f32 v[144:145], v[74:75], s[12:13], v[146:147]
	v_pk_mul_f32 v[150:151], v[96:97], s[34:35]
	v_mov_b32_e32 v3, v145
	v_pk_fma_f32 v[86:87], v[76:77], s[48:49], v[150:151] neg_lo:[0,0,1] neg_hi:[0,0,1]
	v_pk_fma_f32 v[148:149], v[76:77], s[48:49], v[150:151]
	v_pk_add_f32 v[2:3], v[26:27], v[2:3]
	v_mov_b32_e32 v87, v149
	v_pk_mul_f32 v[156:157], v[94:95], s[36:37]
	v_pk_add_f32 v[2:3], v[86:87], v[2:3]
	v_pk_fma_f32 v[86:87], v[78:79], s[20:21], v[156:157] neg_lo:[0,0,1] neg_hi:[0,0,1]
	v_pk_fma_f32 v[154:155], v[78:79], s[20:21], v[156:157]
	v_pk_mul_f32 v[162:163], v[92:93], s[52:53]
	v_mov_b32_e32 v87, v155
	v_pk_add_f32 v[2:3], v[86:87], v[2:3]
	v_pk_fma_f32 v[86:87], v[80:81], s[16:17], v[162:163] neg_lo:[0,0,1] neg_hi:[0,0,1]
	v_pk_fma_f32 v[160:161], v[80:81], s[16:17], v[162:163]
	s_mov_b32 s50, 0x3e750f2a
	s_mov_b32 s51, s29
	v_mov_b32_e32 v87, v161
	s_mov_b32 s38, s29
	s_mov_b32 s39, s50
	v_pk_mul_f32 v[166:167], v[90:91], s[50:51]
	s_mov_b32 s46, 0x3f52af12
	s_mov_b32 s47, s31
	v_pk_add_f32 v[2:3], v[86:87], v[2:3]
	v_pk_fma_f32 v[86:87], v[82:83], s[38:39], v[166:167] neg_lo:[0,0,1] neg_hi:[0,0,1]
	v_pk_fma_f32 v[164:165], v[82:83], s[38:39], v[166:167]
	s_mov_b32 s44, s31
	s_mov_b32 s45, s46
	v_pk_mul_f32 v[170:171], v[88:89], s[46:47]
	v_mov_b32_e32 v87, v165
	v_pk_fma_f32 v[176:177], v[84:85], s[44:45], v[170:171] neg_lo:[0,0,1] neg_hi:[0,0,1]
	v_pk_fma_f32 v[168:169], v[84:85], s[44:45], v[170:171]
	v_pk_add_f32 v[2:3], v[86:87], v[2:3]
	v_mov_b32_e32 v177, v169
	v_mov_b32_e32 v11, v10
	;; [unrolled: 1-line block ×6, first 2 shown]
	v_pk_add_f32 v[2:3], v[176:177], v[2:3]
	s_waitcnt lgkmcnt(0)
	; wave barrier
	s_and_saveexec_b64 s[34:35], vcc
	s_cbranch_execz .LBB0_17
; %bb.16:
	v_pk_add_f32 v[28:29], v[28:29], v[26:27]
	v_pk_mul_f32 v[192:193], v[78:79], s[42:43]
	v_pk_add_f32 v[28:29], v[34:35], v[28:29]
	s_mov_b32 s43, 0xbeedf032
	v_pk_add_f32 v[28:29], v[36:37], v[28:29]
	s_mov_b32 s54, s43
	;; [unrolled: 2-line block ×4, first 2 shown]
	v_pk_add_f32 v[28:29], v[38:39], v[28:29]
	v_pk_mul_f32 v[34:35], v[98:99], s[54:55]
	v_pk_add_f32 v[28:29], v[40:41], v[28:29]
	v_pk_fma_f32 v[36:37], v[74:75], s[42:43], v[34:35] neg_lo:[1,0,0] neg_hi:[1,0,0]
	v_pk_add_f32 v[28:29], v[50:51], v[28:29]
	v_pk_mul_f32 v[38:39], v[96:97], s[30:31]
	v_pk_add_f32 v[28:29], v[52:53], v[28:29]
	v_pk_fma_f32 v[42:43], v[76:77], s[10:11], v[38:39] neg_lo:[1,0,0] neg_hi:[1,0,0]
	v_pk_add_f32 v[28:29], v[46:47], v[28:29]
	v_pk_mul_f32 v[176:177], v[74:75], s[10:11]
	v_pk_add_f32 v[28:29], v[48:49], v[28:29]
	v_pk_mul_f32 v[180:181], v[78:79], s[14:15]
	v_pk_add_f32 v[194:195], v[56:57], v[28:29]
	v_pk_fma_f32 v[28:29], v[74:75], s[42:43], v[34:35]
	v_pk_mul_f32 v[182:183], v[80:81], s[48:49]
	v_mov_b32_e32 v36, v28
	v_pk_add_f32 v[40:41], v[26:27], v[36:37]
	v_pk_fma_f32 v[36:37], v[76:77], s[10:11], v[38:39]
	v_pk_add_f32 v[102:103], v[102:103], v[176:177] neg_lo:[0,1] neg_hi:[0,1]
	v_mov_b32_e32 v42, v36
	v_pk_add_f32 v[44:45], v[42:43], v[40:41]
	v_pk_mul_f32 v[42:43], v[94:95], s[52:53]
	v_pk_add_f32 v[108:109], v[108:109], v[180:181] neg_lo:[0,1] neg_hi:[0,1]
	v_pk_fma_f32 v[40:41], v[78:79], s[16:17], v[42:43]
	v_pk_fma_f32 v[46:47], v[78:79], s[16:17], v[42:43] neg_lo:[1,0,0] neg_hi:[1,0,0]
	v_pk_mul_f32 v[178:179], v[76:77], s[12:13]
	v_mov_b32_e32 v46, v40
	v_pk_add_f32 v[48:49], v[46:47], v[44:45]
	v_pk_mul_f32 v[46:47], v[92:93], s[22:23]
	v_pk_mul_f32 v[184:185], v[82:83], s[18:19]
	v_pk_fma_f32 v[44:45], v[80:81], s[12:13], v[46:47]
	v_pk_fma_f32 v[50:51], v[80:81], s[12:13], v[46:47] neg_lo:[1,0,0] neg_hi:[1,0,0]
	v_mov_b32_e32 v101, v103
	v_mov_b32_e32 v50, v44
	v_pk_add_f32 v[52:53], v[50:51], v[48:49]
	v_pk_mul_f32 v[50:51], v[90:91], s[40:41]
	v_pk_mul_f32 v[102:103], v[76:77], s[48:49]
	v_pk_fma_f32 v[48:49], v[82:83], s[24:25], v[50:51]
	v_pk_fma_f32 v[56:57], v[82:83], s[24:25], v[50:51] neg_lo:[1,0,0] neg_hi:[1,0,0]
	v_mov_b32_e32 v111, v109
	v_pk_add_f32 v[108:109], v[112:113], v[182:183] neg_lo:[0,1] neg_hi:[0,1]
	v_pk_mul_f32 v[186:187], v[84:85], s[20:21]
	v_mov_b32_e32 v56, v48
	v_pk_add_f32 v[106:107], v[106:107], v[178:179] neg_lo:[0,1] neg_hi:[0,1]
	v_pk_mul_f32 v[178:179], v[78:79], s[20:21]
	v_mov_b32_e32 v115, v109
	v_pk_add_f32 v[108:109], v[116:117], v[184:185] neg_lo:[0,1] neg_hi:[0,1]
	v_pk_add_f32 v[102:103], v[150:151], v[102:103] neg_lo:[0,1] neg_hi:[0,1]
	v_pk_mul_f32 v[188:189], v[74:75], s[16:17]
	v_pk_add_f32 v[196:197], v[56:57], v[52:53]
	v_pk_mul_f32 v[56:57], v[88:89], s[28:29]
	v_mov_b32_e32 v105, v107
	v_pk_mul_f32 v[106:107], v[80:81], s[16:17]
	v_pk_add_f32 v[100:101], v[26:27], v[100:101]
	v_mov_b32_e32 v119, v109
	v_pk_add_f32 v[108:109], v[120:121], v[186:187] neg_lo:[0,1] neg_hi:[0,1]
	v_mov_b32_e32 v149, v103
	v_pk_add_f32 v[102:103], v[156:157], v[178:179] neg_lo:[0,1] neg_hi:[0,1]
	v_pk_mul_f32 v[190:191], v[76:77], s[14:15]
	v_pk_fma_f32 v[52:53], v[84:85], s[14:15], v[56:57]
	v_pk_fma_f32 v[198:199], v[84:85], s[14:15], v[56:57] neg_lo:[1,0,0] neg_hi:[1,0,0]
	v_pk_add_f32 v[100:101], v[104:105], v[100:101]
	v_pk_mul_f32 v[104:105], v[82:83], s[38:39]
	v_mov_b32_e32 v123, v109
	v_pk_add_f32 v[108:109], v[124:125], v[188:189] neg_lo:[0,1] neg_hi:[0,1]
	v_mov_b32_e32 v155, v103
	v_pk_add_f32 v[102:103], v[162:163], v[106:107] neg_lo:[0,1] neg_hi:[0,1]
	v_mov_b32_e32 v198, v52
	v_pk_mul_f32 v[180:181], v[84:85], s[44:45]
	v_pk_add_f32 v[100:101], v[110:111], v[100:101]
	v_mov_b32_e32 v127, v109
	v_pk_add_f32 v[110:111], v[130:131], v[190:191] neg_lo:[0,1] neg_hi:[0,1]
	v_mov_b32_e32 v161, v103
	v_pk_add_f32 v[102:103], v[166:167], v[104:105] neg_lo:[0,1] neg_hi:[0,1]
	v_pk_add_f32 v[196:197], v[198:199], v[196:197]
	v_pk_mul_f32 v[198:199], v[80:81], s[20:21]
	v_pk_add_f32 v[108:109], v[26:27], v[126:127]
	v_mov_b32_e32 v129, v111
	v_pk_add_f32 v[110:111], v[132:133], v[192:193] neg_lo:[0,1] neg_hi:[0,1]
	v_mov_b32_e32 v165, v103
	v_pk_add_f32 v[102:103], v[170:171], v[180:181] neg_lo:[0,1] neg_hi:[0,1]
	v_lshlrev_b32_e32 v36, 3, v174
	v_pk_mul_f32 v[174:175], v[82:83], s[10:11]
	v_pk_add_f32 v[108:109], v[128:129], v[108:109]
	v_mov_b32_e32 v135, v111
	v_pk_add_f32 v[110:111], v[138:139], v[198:199] neg_lo:[0,1] neg_hi:[0,1]
	v_mov_b32_e32 v169, v103
	v_pk_mul_f32 v[102:103], v[98:99], s[40:41]
	ds_write2_b64 v36, v[194:195], v[196:197] offset1:1
	v_pk_mul_f32 v[194:195], v[84:85], s[24:25]
	v_pk_add_f32 v[100:101], v[114:115], v[100:101]
	v_pk_add_f32 v[108:109], v[134:135], v[108:109]
	v_mov_b32_e32 v137, v111
	v_pk_add_f32 v[110:111], v[142:143], v[174:175] neg_lo:[0,1] neg_hi:[0,1]
	v_pk_mul_f32 v[104:105], v[96:97], s[26:27]
	v_pk_fma_f32 v[114:115], v[74:75], s[24:25], v[102:103]
	v_pk_fma_f32 v[116:117], v[74:75], s[24:25], v[102:103] neg_lo:[1,0,0] neg_hi:[1,0,0]
	v_pk_add_f32 v[100:101], v[118:119], v[100:101]
	v_pk_add_f32 v[108:109], v[136:137], v[108:109]
	v_mov_b32_e32 v141, v111
	v_pk_add_f32 v[110:111], v[152:153], v[194:195] neg_lo:[0,1] neg_hi:[0,1]
	v_mov_b32_e32 v116, v114
	v_pk_fma_f32 v[118:119], v[76:77], s[18:19], v[104:105]
	v_pk_fma_f32 v[120:121], v[76:77], s[18:19], v[104:105] neg_lo:[1,0,0] neg_hi:[1,0,0]
	v_pk_add_f32 v[108:109], v[140:141], v[108:109]
	v_mov_b32_e32 v159, v111
	v_pk_mul_f32 v[106:107], v[94:95], s[30:31]
	v_pk_add_f32 v[116:117], v[26:27], v[116:117]
	v_mov_b32_e32 v120, v118
	v_pk_mul_f32 v[176:177], v[74:75], s[12:13]
	v_pk_add_f32 v[100:101], v[122:123], v[100:101]
	v_pk_add_f32 v[108:109], v[158:159], v[108:109]
	;; [unrolled: 1-line block ×3, first 2 shown]
	v_pk_fma_f32 v[120:121], v[78:79], s[10:11], v[106:107]
	v_pk_fma_f32 v[122:123], v[78:79], s[10:11], v[106:107] neg_lo:[1,0,0] neg_hi:[1,0,0]
	ds_write2_b64 v36, v[100:101], v[108:109] offset0:2 offset1:3
	v_pk_add_f32 v[100:101], v[146:147], v[176:177] neg_lo:[0,1] neg_hi:[0,1]
	v_pk_mul_f32 v[108:109], v[92:93], s[50:51]
	v_mov_b32_e32 v122, v120
	v_mov_b32_e32 v145, v101
	v_pk_add_f32 v[116:117], v[122:123], v[116:117]
	v_pk_fma_f32 v[122:123], v[80:81], s[38:39], v[108:109]
	v_pk_fma_f32 v[124:125], v[80:81], s[38:39], v[108:109] neg_lo:[1,0,0] neg_hi:[1,0,0]
	v_pk_add_f32 v[100:101], v[26:27], v[144:145]
	v_pk_mul_f32 v[110:111], v[90:91], s[36:37]
	v_mov_b32_e32 v124, v122
	v_pk_add_f32 v[100:101], v[148:149], v[100:101]
	v_pk_add_f32 v[116:117], v[124:125], v[116:117]
	v_pk_fma_f32 v[124:125], v[82:83], s[20:21], v[110:111]
	v_pk_fma_f32 v[126:127], v[82:83], s[20:21], v[110:111] neg_lo:[1,0,0] neg_hi:[1,0,0]
	v_pk_add_f32 v[100:101], v[154:155], v[100:101]
	v_pk_mul_f32 v[112:113], v[88:89], s[22:23]
	v_mov_b32_e32 v126, v124
	v_pk_add_f32 v[100:101], v[160:161], v[100:101]
	v_pk_add_f32 v[116:117], v[126:127], v[116:117]
	v_pk_fma_f32 v[126:127], v[84:85], s[12:13], v[112:113]
	v_pk_fma_f32 v[128:129], v[84:85], s[12:13], v[112:113] neg_lo:[1,0,0] neg_hi:[1,0,0]
	v_pk_add_f32 v[100:101], v[164:165], v[100:101]
	v_mov_b32_e32 v128, v126
	v_pk_add_f32 v[100:101], v[168:169], v[100:101]
	v_pk_add_f32 v[116:117], v[128:129], v[116:117]
	v_pk_mul_f32 v[98:99], v[98:99], s[28:29]
	ds_write2_b64 v36, v[100:101], v[116:117] offset0:4 offset1:5
	v_pk_fma_f32 v[100:101], v[74:75], s[14:15], v[98:99]
	v_pk_fma_f32 v[116:117], v[74:75], s[14:15], v[98:99] neg_lo:[1,0,0] neg_hi:[1,0,0]
	v_pk_mul_f32 v[96:97], v[96:97], s[36:37]
	v_mov_b32_e32 v116, v100
	v_pk_fma_f32 v[128:129], v[76:77], s[20:21], v[96:97]
	v_pk_fma_f32 v[130:131], v[76:77], s[20:21], v[96:97] neg_lo:[1,0,0] neg_hi:[1,0,0]
	v_pk_add_f32 v[116:117], v[26:27], v[116:117]
	v_mov_b32_e32 v130, v128
	v_pk_mul_f32 v[94:95], v[94:95], s[40:41]
	v_pk_add_f32 v[116:117], v[130:131], v[116:117]
	v_pk_fma_f32 v[130:131], v[78:79], s[24:25], v[94:95]
	v_pk_fma_f32 v[132:133], v[78:79], s[24:25], v[94:95] neg_lo:[1,0,0] neg_hi:[1,0,0]
	v_pk_mul_f32 v[92:93], v[92:93], s[46:47]
	v_mov_b32_e32 v132, v130
	v_pk_fma_f32 v[98:99], v[74:75], s[14:15], v[98:99] neg_lo:[0,0,1] neg_hi:[0,0,1]
	v_pk_add_f32 v[116:117], v[132:133], v[116:117]
	v_pk_fma_f32 v[132:133], v[80:81], s[44:45], v[92:93]
	v_pk_fma_f32 v[134:135], v[80:81], s[44:45], v[92:93] neg_lo:[1,0,0] neg_hi:[1,0,0]
	v_mov_b32_e32 v99, v101
	v_pk_fma_f32 v[96:97], v[76:77], s[20:21], v[96:97] neg_lo:[0,0,1] neg_hi:[0,0,1]
	v_mov_b32_e32 v134, v132
	v_pk_mul_f32 v[90:91], v[90:91], s[22:23]
	v_pk_add_f32 v[98:99], v[26:27], v[98:99]
	v_mov_b32_e32 v97, v129
	v_pk_fma_f32 v[94:95], v[78:79], s[24:25], v[94:95] neg_lo:[0,0,1] neg_hi:[0,0,1]
	v_pk_add_f32 v[116:117], v[134:135], v[116:117]
	v_pk_fma_f32 v[134:135], v[82:83], s[12:13], v[90:91]
	v_pk_fma_f32 v[136:137], v[82:83], s[12:13], v[90:91] neg_lo:[1,0,0] neg_hi:[1,0,0]
	v_pk_add_f32 v[96:97], v[96:97], v[98:99]
	v_mov_b32_e32 v95, v131
	v_pk_fma_f32 v[92:93], v[80:81], s[44:45], v[92:93] neg_lo:[0,0,1] neg_hi:[0,0,1]
	v_mov_b32_e32 v136, v134
	v_pk_mul_f32 v[88:89], v[88:89], s[26:27]
	v_pk_add_f32 v[94:95], v[94:95], v[96:97]
	v_mov_b32_e32 v93, v133
	v_pk_fma_f32 v[90:91], v[82:83], s[12:13], v[90:91] neg_lo:[0,0,1] neg_hi:[0,0,1]
	v_pk_add_f32 v[116:117], v[136:137], v[116:117]
	v_pk_fma_f32 v[136:137], v[84:85], s[18:19], v[88:89]
	v_pk_fma_f32 v[138:139], v[84:85], s[18:19], v[88:89] neg_lo:[1,0,0] neg_hi:[1,0,0]
	v_pk_add_f32 v[92:93], v[92:93], v[94:95]
	v_mov_b32_e32 v91, v135
	v_pk_fma_f32 v[88:89], v[84:85], s[18:19], v[88:89] neg_lo:[0,0,1] neg_hi:[0,0,1]
	v_mov_b32_e32 v138, v136
	v_pk_add_f32 v[90:91], v[90:91], v[92:93]
	v_mov_b32_e32 v89, v137
	v_pk_add_f32 v[116:117], v[138:139], v[116:117]
	v_pk_add_f32 v[88:89], v[88:89], v[90:91]
	ds_write2_b64 v36, v[116:117], v[88:89] offset0:6 offset1:7
	v_pk_fma_f32 v[88:89], v[74:75], s[24:25], v[102:103] neg_lo:[0,0,1] neg_hi:[0,0,1]
	v_pk_fma_f32 v[34:35], v[74:75], s[42:43], v[34:35] neg_lo:[0,0,1] neg_hi:[0,0,1]
	v_mov_b32_e32 v89, v115
	v_pk_fma_f32 v[90:91], v[76:77], s[18:19], v[104:105] neg_lo:[0,0,1] neg_hi:[0,0,1]
	v_mov_b32_e32 v35, v29
	v_pk_fma_f32 v[28:29], v[76:77], s[10:11], v[38:39] neg_lo:[0,0,1] neg_hi:[0,0,1]
	v_pk_add_f32 v[88:89], v[26:27], v[88:89]
	v_mov_b32_e32 v91, v119
	v_pk_add_f32 v[26:27], v[26:27], v[34:35]
	v_mov_b32_e32 v29, v37
	v_pk_add_f32 v[88:89], v[90:91], v[88:89]
	v_pk_fma_f32 v[90:91], v[78:79], s[10:11], v[106:107] neg_lo:[0,0,1] neg_hi:[0,0,1]
	v_pk_add_f32 v[26:27], v[28:29], v[26:27]
	v_pk_fma_f32 v[28:29], v[78:79], s[16:17], v[42:43] neg_lo:[0,0,1] neg_hi:[0,0,1]
	v_mov_b32_e32 v91, v121
	v_mov_b32_e32 v29, v41
	v_pk_add_f32 v[88:89], v[90:91], v[88:89]
	v_pk_fma_f32 v[90:91], v[80:81], s[38:39], v[108:109] neg_lo:[0,0,1] neg_hi:[0,0,1]
	v_pk_add_f32 v[26:27], v[28:29], v[26:27]
	v_pk_fma_f32 v[28:29], v[80:81], s[12:13], v[46:47] neg_lo:[0,0,1] neg_hi:[0,0,1]
	v_mov_b32_e32 v91, v123
	v_mov_b32_e32 v29, v45
	v_pk_add_f32 v[88:89], v[90:91], v[88:89]
	v_pk_fma_f32 v[90:91], v[82:83], s[20:21], v[110:111] neg_lo:[0,0,1] neg_hi:[0,0,1]
	v_pk_add_f32 v[26:27], v[28:29], v[26:27]
	v_pk_fma_f32 v[28:29], v[82:83], s[24:25], v[50:51] neg_lo:[0,0,1] neg_hi:[0,0,1]
	v_mov_b32_e32 v91, v125
	v_mov_b32_e32 v29, v49
	v_pk_add_f32 v[88:89], v[90:91], v[88:89]
	v_pk_fma_f32 v[90:91], v[84:85], s[12:13], v[112:113] neg_lo:[0,0,1] neg_hi:[0,0,1]
	v_pk_add_f32 v[26:27], v[28:29], v[26:27]
	v_pk_fma_f32 v[28:29], v[84:85], s[14:15], v[56:57] neg_lo:[0,0,1] neg_hi:[0,0,1]
	v_mov_b32_e32 v91, v127
	v_mov_b32_e32 v29, v53
	v_pk_add_f32 v[88:89], v[90:91], v[88:89]
	v_pk_add_f32 v[26:27], v[28:29], v[26:27]
	ds_write2_b64 v36, v[88:89], v[2:3] offset0:8 offset1:9
	ds_write2_b64 v36, v[30:31], v[32:33] offset0:10 offset1:11
	ds_write_b64 v36, v[26:27] offset:96
.LBB0_17:
	s_or_b64 exec, exec, s[34:35]
	s_waitcnt lgkmcnt(0)
	; wave barrier
	s_waitcnt lgkmcnt(0)
	ds_read2_b64 v[26:29], v55 offset0:104 offset1:156
	v_mov_b32_e32 v40, v24
	v_mov_b32_e32 v41, v24
	;; [unrolled: 1-line block ×3, first 2 shown]
	v_add_u32_e32 v44, 0x800, v55
	s_waitcnt lgkmcnt(0)
	v_pk_mul_f32 v[34:35], v[24:25], v[28:29] op_sel:[0,1] op_sel_hi:[1,0]
	v_pk_mul_f32 v[46:47], v[8:9], v[28:29] op_sel:[0,1] op_sel_hi:[1,0]
	v_pk_fma_f32 v[42:43], v[8:9], v[28:29], v[34:35]
	ds_read2_b64 v[34:37], v44 offset0:56 offset1:108
	v_mov_b32_e32 v43, v46
	v_pk_fma_f32 v[8:9], v[8:9], v[28:29], v[42:43] op_sel:[0,1,0] op_sel_hi:[1,0,1] neg_lo:[1,0,0] neg_hi:[1,0,0]
	v_add_u32_e32 v45, 0x400, v55
	v_mov_b32_e32 v8, v7
	s_waitcnt lgkmcnt(0)
	v_pk_mul_f32 v[28:29], v[8:9], v[34:35] op_sel:[0,1] op_sel_hi:[1,0]
	v_pk_mul_f32 v[46:47], v[6:7], v[34:35] op_sel:[0,1] op_sel_hi:[1,0]
	v_pk_fma_f32 v[28:29], v[6:7], v[34:35], v[28:29]
	v_mov_b32_e32 v43, v9
	v_mov_b32_e32 v29, v46
	v_pk_fma_f32 v[6:7], v[6:7], v[34:35], v[28:29] op_sel:[0,1,0] op_sel_hi:[1,0,1] neg_lo:[1,0,0] neg_hi:[1,0,0]
	s_mov_b32 s12, 0x3f441b7d
	v_mov_b32_e32 v29, v7
	ds_read2_b64 v[6:9], v55 offset1:52
	v_pk_add_f32 v[34:35], v[42:43], v[28:29]
	v_pk_add_f32 v[28:29], v[42:43], v[28:29] neg_lo:[0,1] neg_hi:[0,1]
	ds_read2_b64 v[46:49], v45 offset0:80 offset1:132
	ds_read_b64 v[42:43], v55 offset:3328
	s_mov_b32 s16, 0x3e31d0d4
	s_waitcnt lgkmcnt(2)
	v_pk_mul_f32 v[50:51], v[66:67], v[8:9] op_sel_hi:[0,1]
	v_pk_fma_f32 v[52:53], v[12:13], v[8:9], v[50:51] op_sel:[0,0,1] op_sel_hi:[1,1,0]
	v_pk_fma_f32 v[8:9], v[12:13], v[8:9], v[50:51] op_sel:[0,0,1] op_sel_hi:[0,1,0] neg_lo:[0,0,1] neg_hi:[0,0,1]
	v_mov_b32_e32 v53, v9
	v_pk_mul_f32 v[8:9], v[64:65], v[26:27] op_sel_hi:[0,1]
	v_pk_fma_f32 v[12:13], v[66:67], v[26:27], v[8:9] op_sel:[1,0,1] op_sel_hi:[1,1,0]
	v_pk_fma_f32 v[8:9], v[66:67], v[26:27], v[8:9] op_sel:[1,0,1] op_sel_hi:[1,1,0] neg_lo:[0,0,1] neg_hi:[0,0,1]
	s_waitcnt lgkmcnt(1)
	v_pk_mul_f32 v[4:5], v[4:5], v[48:49]
	v_mov_b32_e32 v13, v9
	v_pk_mul_f32 v[8:9], v[62:63], v[46:47]
	s_mov_b32 s18, 0x3f708fb2
	v_pk_fma_f32 v[26:27], v[10:11], v[46:47], v[8:9] op_sel:[0,0,1] op_sel_hi:[1,1,0]
	v_pk_fma_f32 v[8:9], v[10:11], v[46:47], v[8:9] op_sel:[0,0,1] op_sel_hi:[1,1,0] neg_lo:[0,0,1] neg_hi:[0,0,1]
	v_pk_mul_f32 v[46:47], v[60:61], v[36:37] op_sel_hi:[0,1]
	v_pk_fma_f32 v[10:11], v[86:87], v[48:49], v[4:5] op_sel:[0,0,1] op_sel_hi:[1,1,0]
	v_pk_fma_f32 v[4:5], v[86:87], v[48:49], v[4:5] op_sel:[0,0,1] op_sel_hi:[1,1,0] neg_lo:[0,0,1] neg_hi:[0,0,1]
	v_pk_fma_f32 v[48:49], v[0:1], v[36:37], v[46:47] op_sel:[0,0,1] op_sel_hi:[1,1,0]
	v_pk_fma_f32 v[0:1], v[0:1], v[36:37], v[46:47] op_sel:[0,0,1] op_sel_hi:[0,1,0] neg_lo:[0,0,1] neg_hi:[0,0,1]
	v_mov_b32_e32 v49, v1
	s_waitcnt lgkmcnt(0)
	v_pk_mul_f32 v[0:1], v[58:59], v[42:43] op_sel_hi:[0,1]
	v_pk_fma_f32 v[36:37], v[60:61], v[42:43], v[0:1] op_sel:[1,0,1] op_sel_hi:[1,1,0]
	v_pk_fma_f32 v[0:1], v[60:61], v[42:43], v[0:1] op_sel:[1,0,1] op_sel_hi:[1,1,0] neg_lo:[0,0,1] neg_hi:[0,0,1]
	v_pk_add_f32 v[46:47], v[12:13], v[48:49]
	v_mov_b32_e32 v37, v1
	v_pk_add_f32 v[42:43], v[52:53], v[36:37]
	v_mov_b32_e32 v11, v5
	v_pk_fma_f32 v[50:51], v[42:43], s[12:13], v[6:7] op_sel_hi:[1,0,1]
	v_mov_b32_e32 v0, v9
	v_mov_b32_e32 v1, v26
	;; [unrolled: 1-line block ×4, first 2 shown]
	v_pk_fma_f32 v[50:51], v[46:47], s[16:17], v[50:51] op_sel_hi:[1,0,1]
	v_mov_b32_e32 v27, v9
	v_pk_add_f32 v[8:9], v[0:1], v[4:5] neg_lo:[0,1] neg_hi:[0,1]
	v_pk_fma_f32 v[50:51], v[34:35], 0.5, v[50:51] op_sel_hi:[1,0,1] neg_lo:[1,0,0] neg_hi:[1,0,0]
	v_pk_add_f32 v[4:5], v[0:1], v[4:5]
	s_mov_b32 s20, 0x3f248dbb
	v_pk_fma_f32 v[0:1], v[4:5], s[18:19], v[50:51] op_sel:[1,0,0] op_sel_hi:[0,0,1] neg_lo:[1,0,0] neg_hi:[1,0,0]
	v_pk_add_f32 v[50:51], v[46:47], v[42:43]
	s_mov_b32 s21, 0x3f7c1c5c
	v_pk_add_f32 v[56:57], v[34:35], v[50:51]
	s_mov_b32 s22, s21
	;; [unrolled: 2-line block ×3, first 2 shown]
	v_pk_add_f32 v[10:11], v[10:11], v[26:27]
	v_pk_add_f32 v[26:27], v[52:53], v[36:37] neg_lo:[0,1] neg_hi:[0,1]
	v_pk_add_f32 v[36:37], v[12:13], v[48:49] neg_lo:[0,1] neg_hi:[0,1]
	v_mov_b32_e32 v49, v26
	v_mov_b32_e32 v48, v37
	s_mov_b32 s10, 0x3f5db3d7
	v_mov_b32_e32 v12, v27
	v_mov_b32_e32 v13, v36
	v_pk_mul_f32 v[48:49], v[48:49], s[22:23]
	v_pk_mul_f32 v[28:29], v[28:29], s[10:11] op_sel_hi:[1,0]
	v_pk_fma_f32 v[12:13], v[12:13], s[20:21], v[48:49]
	s_mov_b32 s14, 0x3eaf1d44
	v_pk_add_f32 v[12:13], v[28:29], v[12:13] op_sel:[1,0] op_sel_hi:[0,1]
	s_mov_b32 s20, s21
	v_pk_fma_f32 v[12:13], v[8:9], s[14:15], v[12:13] op_sel_hi:[1,0,1]
	v_pk_mul_f32 v[52:53], v[26:27], s[20:21] op_sel_hi:[1,0]
	s_mov_b32 s22, 0xbf248dbb
	v_pk_add_f32 v[48:49], v[0:1], v[12:13] neg_lo:[0,1] neg_hi:[0,1]
	v_pk_add_f32 v[0:1], v[0:1], v[12:13]
	v_pk_fma_f32 v[52:53], v[8:9], s[22:23], v[52:53] op_sel:[0,0,1] op_sel_hi:[1,0,0]
	v_pk_add_f32 v[10:11], v[10:11], v[6:7]
	v_mov_b32_e32 v49, v1
	v_pk_add_f32 v[52:53], v[52:53], v[28:29] op_sel:[0,1] op_sel_hi:[1,0] neg_lo:[0,1] neg_hi:[0,1]
	v_pk_mul_f32 v[56:57], v[36:37], s[14:15] op_sel_hi:[1,0]
	s_waitcnt lgkmcnt(0)
	; wave barrier
	v_pk_add_f32 v[52:53], v[56:57], v[52:53] op_sel:[1,0] op_sel_hi:[0,1]
	v_pk_fma_f32 v[56:57], v[4:5], s[12:13], v[6:7] op_sel:[1,0,0] op_sel_hi:[0,0,1]
	ds_write2_b64 v173, v[10:11], v[48:49] offset1:13
	v_pk_add_f32 v[10:11], v[34:35], v[6:7]
	v_pk_fma_f32 v[6:7], v[46:47], s[12:13], v[6:7] op_sel_hi:[1,0,1]
	v_pk_fma_f32 v[0:1], v[12:13], 2.0, v[48:49] op_sel_hi:[1,0,1]
	v_pk_fma_f32 v[12:13], v[12:13], 2.0, v[48:49] op_sel_hi:[1,0,1] neg_lo:[1,0,0] neg_hi:[1,0,0]
	v_pk_fma_f32 v[56:57], v[42:43], s[16:17], v[56:57] op_sel_hi:[1,0,1]
	v_pk_add_f32 v[48:49], v[4:5], v[50:51] op_sel:[1,0] op_sel_hi:[0,1]
	v_pk_fma_f32 v[4:5], v[4:5], s[16:17], v[6:7] op_sel:[1,0,0] op_sel_hi:[0,0,1]
	v_pk_mul_f32 v[6:7], v[36:37], s[22:23] op_sel_hi:[1,0]
	v_pk_fma_f32 v[56:57], v[34:35], 0.5, v[56:57] op_sel_hi:[1,0,1] neg_lo:[1,0,0] neg_hi:[1,0,0]
	v_pk_fma_f32 v[6:7], v[8:9], s[20:21], v[6:7] op_sel:[0,0,1] op_sel_hi:[1,0,0] neg_lo:[1,0,0] neg_hi:[1,0,0]
	v_pk_fma_f32 v[56:57], v[46:47], s[18:19], v[56:57] op_sel_hi:[1,0,1] neg_lo:[1,0,0] neg_hi:[1,0,0]
	v_pk_fma_f32 v[10:11], v[48:49], 0.5, v[10:11] op_sel_hi:[1,0,1] neg_lo:[1,0,0] neg_hi:[1,0,0]
	v_pk_add_f32 v[48:49], v[8:9], v[26:27] op_sel:[0,1] op_sel_hi:[1,0]
	v_pk_fma_f32 v[4:5], v[34:35], 0.5, v[4:5] op_sel_hi:[1,0,1] neg_lo:[1,0,0] neg_hi:[1,0,0]
	v_pk_add_f32 v[6:7], v[28:29], v[6:7] op_sel:[1,0] op_sel_hi:[0,1]
	v_pk_mul_f32 v[8:9], v[26:27], s[14:15] op_sel_hi:[1,0]
	v_pk_add_f32 v[58:59], v[56:57], v[52:53] neg_lo:[0,1] neg_hi:[0,1]
	v_pk_add_f32 v[56:57], v[56:57], v[52:53]
	v_pk_add_f32 v[48:49], v[48:49], v[36:37] op_sel:[0,1] op_sel_hi:[1,0] neg_lo:[0,1] neg_hi:[0,1]
	v_pk_fma_f32 v[4:5], v[42:43], s[18:19], v[4:5] op_sel_hi:[1,0,1] neg_lo:[1,0,0] neg_hi:[1,0,0]
	v_pk_add_f32 v[6:7], v[8:9], v[6:7] op_sel:[1,0] op_sel_hi:[0,1]
	v_fma_f32 v56, 2.0, v52, v58
	v_mov_b32_e32 v59, v57
	v_fmac_f32_e32 v57, -2.0, v53
	v_pk_mul_f32 v[50:51], v[48:49], s[10:11] op_sel_hi:[1,0]
	v_pk_fma_f32 v[52:53], v[48:49], s[10:11], v[10:11] op_sel_hi:[1,0,1] neg_lo:[1,0,0] neg_hi:[1,0,0]
	v_pk_fma_f32 v[10:11], v[48:49], s[10:11], v[10:11] op_sel_hi:[1,0,1]
	v_pk_add_f32 v[8:9], v[4:5], v[6:7] neg_lo:[0,1] neg_hi:[0,1]
	v_pk_add_f32 v[4:5], v[4:5], v[6:7]
	v_fma_f32 v10, 2.0, v50, v52
	v_mov_b32_e32 v53, v11
	v_fmac_f32_e32 v11, -2.0, v51
	v_fma_f32 v4, 2.0, v6, v8
	v_mov_b32_e32 v9, v5
	v_fmac_f32_e32 v5, -2.0, v7
	v_mov_b32_e32 v1, v13
	ds_write2_b64 v173, v[58:59], v[52:53] offset0:26 offset1:39
	ds_write2_b64 v173, v[8:9], v[4:5] offset0:52 offset1:65
	;; [unrolled: 1-line block ×3, first 2 shown]
	ds_write_b64 v173, v[0:1] offset:832
	s_waitcnt lgkmcnt(0)
	; wave barrier
	s_waitcnt lgkmcnt(0)
	ds_read2_b64 v[4:7], v55 offset1:52
	ds_read2_b64 v[34:37], v55 offset0:117 offset1:169
	ds_read2_b64 v[26:29], v45 offset0:106 offset1:158
	;; [unrolled: 1-line block ×3, first 2 shown]
	v_mov_b32_e32 v38, v22
	v_mov_b32_e32 v39, v22
	;; [unrolled: 1-line block ×7, first 2 shown]
	s_and_saveexec_b64 s[10:11], s[0:1]
	s_cbranch_execz .LBB0_19
; %bb.18:
	ds_read2_b64 v[0:3], v55 offset0:104 offset1:221
	ds_read2_b64 v[30:33], v44 offset0:82 offset1:199
	s_waitcnt lgkmcnt(1)
	v_mov_b32_e32 v13, v1
.LBB0_19:
	s_or_b64 exec, exec, s[10:11]
	s_waitcnt lgkmcnt(2)
	v_pk_mul_f32 v[46:47], v[18:19], v[34:35] op_sel:[1,0]
	s_waitcnt lgkmcnt(1)
	v_pk_mul_f32 v[48:49], v[20:21], v[26:27] op_sel:[1,0]
	v_pk_fma_f32 v[56:57], v[18:19], v[34:35], v[46:47] op_sel:[0,0,1] op_sel_hi:[1,1,0]
	v_pk_fma_f32 v[18:19], v[18:19], v[34:35], v[46:47] op_sel:[0,0,1] op_sel_hi:[0,1,0] neg_lo:[0,0,1] neg_hi:[0,0,1]
	s_waitcnt lgkmcnt(0)
	v_pk_mul_f32 v[50:51], v[70:71], v[8:9] op_sel:[1,0]
	v_mov_b32_e32 v57, v19
	v_pk_fma_f32 v[18:19], v[20:21], v[26:27], v[48:49] op_sel:[0,0,1] op_sel_hi:[1,1,0]
	v_pk_fma_f32 v[20:21], v[20:21], v[26:27], v[48:49] op_sel:[0,0,1] op_sel_hi:[0,1,0] neg_lo:[0,0,1] neg_hi:[0,0,1]
	v_mov_b32_e32 v19, v21
	v_pk_fma_f32 v[20:21], v[70:71], v[8:9], v[50:51] op_sel:[0,0,1] op_sel_hi:[1,1,0]
	v_pk_fma_f32 v[8:9], v[70:71], v[8:9], v[50:51] op_sel:[0,0,1] op_sel_hi:[0,1,0] neg_lo:[0,0,1] neg_hi:[0,0,1]
	v_mov_b32_e32 v21, v9
	v_pk_add_f32 v[8:9], v[4:5], v[18:19] neg_lo:[0,1] neg_hi:[0,1]
	v_pk_add_f32 v[18:19], v[56:57], v[20:21] neg_lo:[0,1] neg_hi:[0,1]
	v_pk_mul_f32 v[22:23], v[22:23], v[36:37]
	v_pk_fma_f32 v[20:21], v[56:57], 2.0, v[18:19] op_sel_hi:[1,0,1] neg_lo:[0,0,1] neg_hi:[0,0,1]
	v_pk_add_f32 v[26:27], v[8:9], v[18:19] op_sel:[0,1] op_sel_hi:[1,0]
	v_pk_add_f32 v[18:19], v[8:9], v[18:19] op_sel:[0,1] op_sel_hi:[1,0] neg_lo:[0,1] neg_hi:[0,1]
	v_pk_mul_f32 v[24:25], v[24:25], v[28:29]
	v_mov_b32_e32 v27, v19
	v_pk_fma_f32 v[18:19], v[38:39], v[36:37], v[22:23] op_sel:[0,0,1] op_sel_hi:[1,1,0]
	v_pk_fma_f32 v[22:23], v[38:39], v[36:37], v[22:23] op_sel:[0,0,1] op_sel_hi:[1,1,0] neg_lo:[0,0,1] neg_hi:[0,0,1]
	v_pk_mul_f32 v[52:53], v[72:73], v[10:11]
	v_mov_b32_e32 v19, v23
	v_pk_fma_f32 v[22:23], v[40:41], v[28:29], v[24:25] op_sel:[0,0,1] op_sel_hi:[1,1,0]
	v_pk_fma_f32 v[24:25], v[40:41], v[28:29], v[24:25] op_sel:[0,0,1] op_sel_hi:[1,1,0] neg_lo:[0,0,1] neg_hi:[0,0,1]
	v_pk_fma_f32 v[4:5], v[4:5], 2.0, v[8:9] op_sel_hi:[1,0,1] neg_lo:[0,0,1] neg_hi:[0,0,1]
	v_mov_b32_e32 v23, v25
	v_pk_fma_f32 v[24:25], v[42:43], v[10:11], v[52:53] op_sel:[0,0,1] op_sel_hi:[1,1,0]
	v_pk_fma_f32 v[10:11], v[42:43], v[10:11], v[52:53] op_sel:[0,0,1] op_sel_hi:[1,1,0] neg_lo:[0,0,1] neg_hi:[0,0,1]
	v_pk_add_f32 v[20:21], v[4:5], v[20:21] neg_lo:[0,1] neg_hi:[0,1]
	v_mov_b32_e32 v25, v11
	v_pk_add_f32 v[10:11], v[6:7], v[22:23] neg_lo:[0,1] neg_hi:[0,1]
	v_pk_add_f32 v[22:23], v[18:19], v[24:25] neg_lo:[0,1] neg_hi:[0,1]
	v_pk_fma_f32 v[6:7], v[6:7], 2.0, v[10:11] op_sel_hi:[1,0,1] neg_lo:[0,0,1] neg_hi:[0,0,1]
	v_pk_fma_f32 v[18:19], v[18:19], 2.0, v[22:23] op_sel_hi:[1,0,1] neg_lo:[0,0,1] neg_hi:[0,0,1]
	;; [unrolled: 1-line block ×3, first 2 shown]
	v_pk_add_f32 v[18:19], v[6:7], v[18:19] neg_lo:[0,1] neg_hi:[0,1]
	v_pk_fma_f32 v[8:9], v[8:9], 2.0, v[26:27] op_sel_hi:[1,0,1] neg_lo:[0,0,1] neg_hi:[0,0,1]
	v_pk_fma_f32 v[6:7], v[6:7], 2.0, v[18:19] op_sel_hi:[1,0,1] neg_lo:[0,0,1] neg_hi:[0,0,1]
	ds_write2_b64 v55, v[4:5], v[6:7] offset1:52
	v_pk_add_f32 v[4:5], v[10:11], v[22:23] op_sel:[0,1] op_sel_hi:[1,0]
	v_pk_add_f32 v[6:7], v[10:11], v[22:23] op_sel:[0,1] op_sel_hi:[1,0] neg_lo:[0,1] neg_hi:[0,1]
	s_nop 0
	v_mov_b32_e32 v5, v7
	v_pk_fma_f32 v[6:7], v[10:11], 2.0, v[4:5] op_sel_hi:[1,0,1] neg_lo:[0,0,1] neg_hi:[0,0,1]
	ds_write2_b64 v55, v[8:9], v[6:7] offset0:117 offset1:169
	ds_write2_b64 v45, v[20:21], v[18:19] offset0:106 offset1:158
	;; [unrolled: 1-line block ×3, first 2 shown]
	s_and_saveexec_b64 s[10:11], s[0:1]
	s_cbranch_execz .LBB0_21
; %bb.20:
	v_pk_mul_f32 v[4:5], v[16:17], v[30:31] op_sel:[0,1]
	v_mov_b32_e32 v1, v13
	v_pk_fma_f32 v[10:11], v[16:17], v[30:31], v[4:5] op_sel:[0,0,1] op_sel_hi:[1,1,0]
	v_pk_fma_f32 v[4:5], v[16:17], v[30:31], v[4:5] op_sel:[0,0,1] op_sel_hi:[1,0,0] neg_lo:[1,0,0] neg_hi:[1,0,0]
	v_pk_mul_f32 v[6:7], v[14:15], v[2:3] op_sel:[0,1]
	v_mov_b32_e32 v11, v5
	v_pk_mul_f32 v[8:9], v[68:69], v[32:33] op_sel:[0,1]
	v_pk_add_f32 v[4:5], v[0:1], v[10:11] neg_lo:[0,1] neg_hi:[0,1]
	v_pk_fma_f32 v[10:11], v[14:15], v[2:3], v[6:7] op_sel:[0,0,1] op_sel_hi:[1,1,0]
	v_pk_fma_f32 v[2:3], v[14:15], v[2:3], v[6:7] op_sel:[0,0,1] op_sel_hi:[1,0,0] neg_lo:[1,0,0] neg_hi:[1,0,0]
	v_pk_fma_f32 v[6:7], v[68:69], v[32:33], v[8:9] op_sel:[0,0,1] op_sel_hi:[1,0,0] neg_lo:[1,0,0] neg_hi:[1,0,0]
	v_mov_b32_e32 v11, v3
	v_pk_fma_f32 v[2:3], v[68:69], v[32:33], v[8:9] op_sel:[0,0,1] op_sel_hi:[1,1,0]
	v_pk_fma_f32 v[0:1], v[0:1], 2.0, v[4:5] op_sel_hi:[1,0,1] neg_lo:[0,0,1] neg_hi:[0,0,1]
	v_mov_b32_e32 v3, v7
	v_pk_add_f32 v[2:3], v[10:11], v[2:3] neg_lo:[0,1] neg_hi:[0,1]
	s_nop 0
	v_pk_fma_f32 v[6:7], v[10:11], 2.0, v[2:3] op_sel_hi:[1,0,1] neg_lo:[0,0,1] neg_hi:[0,0,1]
	v_pk_add_f32 v[8:9], v[4:5], v[2:3] op_sel:[0,1] op_sel_hi:[1,0]
	v_pk_add_f32 v[2:3], v[4:5], v[2:3] op_sel:[0,1] op_sel_hi:[1,0] neg_lo:[0,1] neg_hi:[0,1]
	v_pk_add_f32 v[6:7], v[0:1], v[6:7] neg_lo:[0,1] neg_hi:[0,1]
	v_mov_b32_e32 v9, v3
	v_pk_fma_f32 v[0:1], v[0:1], 2.0, v[6:7] op_sel_hi:[1,0,1] neg_lo:[0,0,1] neg_hi:[0,0,1]
	v_pk_fma_f32 v[2:3], v[4:5], 2.0, v[8:9] op_sel_hi:[1,0,1] neg_lo:[0,0,1] neg_hi:[0,0,1]
	ds_write2_b64 v55, v[0:1], v[2:3] offset0:104 offset1:221
	v_add_u32_e32 v0, 0x800, v55
	ds_write2_b64 v0, v[6:7], v[8:9] offset0:82 offset1:199
.LBB0_21:
	s_or_b64 exec, exec, s[10:11]
	s_waitcnt lgkmcnt(0)
	; wave barrier
	s_waitcnt lgkmcnt(0)
	s_and_b64 exec, exec, vcc
	s_cbranch_execz .LBB0_23
; %bb.22:
	global_load_dwordx2 v[8:9], v55, s[2:3]
	global_load_dwordx2 v[10:11], v55, s[2:3] offset:288
	global_load_dwordx2 v[12:13], v55, s[2:3] offset:576
	;; [unrolled: 1-line block ×3, first 2 shown]
	ds_read_b64 v[16:17], v55
	global_load_dwordx2 v[20:21], v55, s[2:3] offset:1152
	ds_read2_b64 v[0:3], v55 offset0:36 offset1:72
	ds_read2_b64 v[4:7], v55 offset0:108 offset1:144
	global_load_dwordx2 v[26:27], v55, s[2:3] offset:1440
	global_load_dwordx2 v[28:29], v55, s[2:3] offset:1728
	v_mov_b32_e32 v18, s8
	v_mov_b32_e32 v19, s9
	v_mad_u64_u32 v[24:25], s[8:9], s4, v172, 0
	v_mov_b32_e32 v32, v25
	v_mad_u64_u32 v[32:33], s[8:9], s5, v172, v[32:33]
	;; [unrolled: 2-line block ×4, first 2 shown]
	s_mov_b32 s0, 0x11811812
	v_mov_b32_e32 v23, v30
	s_mov_b32 s1, 0x3f618118
	v_lshl_add_u64 v[18:19], v[22:23], 3, v[18:19]
	v_mov_b32_e32 v36, 0x120
	v_lshl_add_u64 v[18:19], v[24:25], 3, v[18:19]
	s_mul_i32 s6, s5, 0x120
	v_mad_u64_u32 v[22:23], s[8:9], s4, v36, v[18:19]
	v_add_u32_e32 v23, s6, v23
	v_mad_u64_u32 v[24:25], s[8:9], s4, v36, v[22:23]
	v_add_u32_e32 v25, s6, v25
	;; [unrolled: 2-line block ×3, first 2 shown]
	s_waitcnt vmcnt(6) lgkmcnt(2)
	v_mul_f32_e32 v32, v17, v9
	v_mul_f32_e32 v9, v16, v9
	v_fmac_f32_e32 v32, v16, v8
	v_fma_f32 v16, v8, v17, -v9
	global_load_dwordx2 v[8:9], v55, s[2:3] offset:2016
	s_waitcnt vmcnt(5) lgkmcnt(1)
	v_mul_f32_e32 v34, v3, v13
	v_mul_f32_e32 v13, v2, v13
	s_waitcnt vmcnt(4) lgkmcnt(0)
	v_mul_f32_e32 v35, v5, v15
	v_mul_f32_e32 v15, v4, v15
	v_fmac_f32_e32 v34, v2, v12
	v_fma_f32 v17, v12, v3, -v13
	v_fmac_f32_e32 v35, v4, v14
	v_fma_f32 v37, v14, v5, -v15
	v_cvt_f64_f32_e32 v[2:3], v16
	v_cvt_f64_f32_e32 v[12:13], v34
	;; [unrolled: 1-line block ×4, first 2 shown]
	global_load_dwordx2 v[34:35], v55, s[2:3] offset:2304
	v_mul_f32_e32 v33, v1, v11
	v_mul_f32_e32 v11, v0, v11
	v_fmac_f32_e32 v33, v0, v10
	v_fma_f32 v10, v10, v1, -v11
	v_cvt_f64_f32_e32 v[0:1], v32
	v_cvt_f64_f32_e32 v[4:5], v33
	;; [unrolled: 1-line block ×3, first 2 shown]
	v_mul_f64 v[0:1], v[0:1], s[0:1]
	v_mul_f64 v[2:3], v[2:3], s[0:1]
	;; [unrolled: 1-line block ×4, first 2 shown]
	v_cvt_f32_f64_e32 v0, v[0:1]
	v_cvt_f32_f64_e32 v1, v[2:3]
	v_mul_f64 v[12:13], v[12:13], s[0:1]
	v_cvt_f32_f64_e32 v2, v[4:5]
	v_cvt_f32_f64_e32 v3, v[10:11]
	global_store_dwordx2 v[18:19], v[0:1], off
	global_store_dwordx2 v[22:23], v[2:3], off
	v_cvt_f32_f64_e32 v4, v[12:13]
	global_load_dwordx2 v[12:13], v55, s[2:3] offset:2592
	s_waitcnt vmcnt(7)
	v_mul_f32_e32 v0, v7, v21
	v_fmac_f32_e32 v0, v6, v20
	v_cvt_f64_f32_e32 v[32:33], v37
	v_mul_f64 v[14:15], v[14:15], s[0:1]
	v_cvt_f64_f32_e32 v[0:1], v0
	v_mul_f64 v[16:17], v[16:17], s[0:1]
	v_mul_f64 v[32:33], v[32:33], s[0:1]
	v_cvt_f32_f64_e32 v5, v[14:15]
	v_mul_f64 v[0:1], v[0:1], s[0:1]
	v_cvt_f32_f64_e32 v10, v[16:17]
	v_cvt_f32_f64_e32 v11, v[32:33]
	global_store_dwordx2 v[24:25], v[4:5], off
	global_store_dwordx2 v[30:31], v[10:11], off
	v_cvt_f32_f64_e32 v4, v[0:1]
	v_mul_f32_e32 v0, v6, v21
	v_fma_f32 v0, v20, v7, -v0
	global_load_dwordx2 v[6:7], v55, s[2:3] offset:2880
	global_load_dwordx2 v[14:15], v55, s[2:3] offset:3168
	v_cvt_f64_f32_e32 v[0:1], v0
	v_mul_f64 v[0:1], v[0:1], s[0:1]
	v_cvt_f32_f64_e32 v5, v[0:1]
	ds_read2_b64 v[0:3], v55 offset0:180 offset1:216
	v_mad_u64_u32 v[10:11], s[8:9], s4, v36, v[30:31]
	v_add_u32_e32 v11, s6, v11
	global_store_dwordx2 v[10:11], v[4:5], off
	s_waitcnt vmcnt(11) lgkmcnt(0)
	v_mul_f32_e32 v4, v1, v27
	v_fmac_f32_e32 v4, v0, v26
	v_mul_f32_e32 v0, v0, v27
	v_fma_f32 v0, v26, v1, -v0
	v_cvt_f64_f32_e32 v[4:5], v4
	v_cvt_f64_f32_e32 v[0:1], v0
	v_mul_f64 v[4:5], v[4:5], s[0:1]
	v_mul_f64 v[0:1], v[0:1], s[0:1]
	v_cvt_f32_f64_e32 v4, v[4:5]
	v_cvt_f32_f64_e32 v5, v[0:1]
	s_waitcnt vmcnt(10)
	v_mul_f32_e32 v0, v3, v29
	v_fmac_f32_e32 v0, v2, v28
	v_mad_u64_u32 v[10:11], s[8:9], s4, v36, v[10:11]
	v_cvt_f64_f32_e32 v[0:1], v0
	v_add_u32_e32 v11, s6, v11
	v_mul_f64 v[0:1], v[0:1], s[0:1]
	global_store_dwordx2 v[10:11], v[4:5], off
	v_cvt_f32_f64_e32 v4, v[0:1]
	v_mul_f32_e32 v0, v2, v29
	v_fma_f32 v0, v28, v3, -v0
	v_cvt_f64_f32_e32 v[0:1], v0
	v_mul_f64 v[0:1], v[0:1], s[0:1]
	v_cvt_f32_f64_e32 v5, v[0:1]
	v_add_u32_e32 v0, 0x400, v55
	ds_read2_b64 v[0:3], v0 offset0:124 offset1:160
	v_mad_u64_u32 v[10:11], s[8:9], s4, v36, v[10:11]
	v_add_u32_e32 v11, s6, v11
	global_store_dwordx2 v[10:11], v[4:5], off
	s_waitcnt vmcnt(11) lgkmcnt(0)
	v_mul_f32_e32 v4, v1, v9
	v_fmac_f32_e32 v4, v0, v8
	v_mul_f32_e32 v0, v0, v9
	v_fma_f32 v0, v8, v1, -v0
	v_cvt_f64_f32_e32 v[4:5], v4
	v_cvt_f64_f32_e32 v[0:1], v0
	v_mul_f64 v[4:5], v[4:5], s[0:1]
	v_mul_f64 v[0:1], v[0:1], s[0:1]
	v_cvt_f32_f64_e32 v4, v[4:5]
	v_cvt_f32_f64_e32 v5, v[0:1]
	s_waitcnt vmcnt(10)
	v_mul_f32_e32 v0, v3, v35
	v_fmac_f32_e32 v0, v2, v34
	v_mad_u64_u32 v[8:9], s[8:9], s4, v36, v[10:11]
	v_cvt_f64_f32_e32 v[0:1], v0
	v_add_u32_e32 v9, s6, v9
	v_mul_f64 v[0:1], v[0:1], s[0:1]
	global_store_dwordx2 v[8:9], v[4:5], off
	v_cvt_f32_f64_e32 v4, v[0:1]
	v_mul_f32_e32 v0, v2, v35
	v_fma_f32 v0, v34, v3, -v0
	v_cvt_f64_f32_e32 v[0:1], v0
	v_mul_f64 v[0:1], v[0:1], s[0:1]
	v_add_u32_e32 v10, 0x800, v55
	v_cvt_f32_f64_e32 v5, v[0:1]
	ds_read2_b64 v[0:3], v10 offset0:68 offset1:104
	v_mad_u64_u32 v[8:9], s[8:9], s4, v36, v[8:9]
	v_add_u32_e32 v9, s6, v9
	global_store_dwordx2 v[8:9], v[4:5], off
	s_waitcnt vmcnt(9) lgkmcnt(0)
	v_mul_f32_e32 v4, v1, v13
	v_fmac_f32_e32 v4, v0, v12
	v_mul_f32_e32 v0, v0, v13
	v_fma_f32 v0, v12, v1, -v0
	v_cvt_f64_f32_e32 v[4:5], v4
	v_cvt_f64_f32_e32 v[0:1], v0
	v_mul_f64 v[4:5], v[4:5], s[0:1]
	v_mul_f64 v[0:1], v[0:1], s[0:1]
	v_cvt_f32_f64_e32 v4, v[4:5]
	v_cvt_f32_f64_e32 v5, v[0:1]
	s_waitcnt vmcnt(6)
	v_mul_f32_e32 v0, v3, v7
	v_fmac_f32_e32 v0, v2, v6
	v_mad_u64_u32 v[8:9], s[8:9], s4, v36, v[8:9]
	v_cvt_f64_f32_e32 v[0:1], v0
	v_add_u32_e32 v9, s6, v9
	v_mul_f64 v[0:1], v[0:1], s[0:1]
	global_store_dwordx2 v[8:9], v[4:5], off
	v_cvt_f32_f64_e32 v4, v[0:1]
	v_mul_f32_e32 v0, v2, v7
	v_fma_f32 v0, v6, v3, -v0
	v_cvt_f64_f32_e32 v[0:1], v0
	v_mul_f64 v[0:1], v[0:1], s[0:1]
	v_cvt_f32_f64_e32 v5, v[0:1]
	ds_read2_b64 v[0:3], v10 offset0:140 offset1:176
	v_mad_u64_u32 v[6:7], s[8:9], s4, v36, v[8:9]
	v_add_u32_e32 v7, s6, v7
	global_store_dwordx2 v[6:7], v[4:5], off
	s_waitcnt vmcnt(7) lgkmcnt(0)
	v_mul_f32_e32 v4, v1, v15
	v_fmac_f32_e32 v4, v0, v14
	v_mul_f32_e32 v0, v0, v15
	v_fma_f32 v0, v14, v1, -v0
	v_cvt_f64_f32_e32 v[4:5], v4
	v_cvt_f64_f32_e32 v[0:1], v0
	v_mul_f64 v[4:5], v[4:5], s[0:1]
	v_mul_f64 v[0:1], v[0:1], s[0:1]
	v_cvt_f32_f64_e32 v4, v[4:5]
	v_cvt_f32_f64_e32 v5, v[0:1]
	v_mad_u64_u32 v[0:1], s[8:9], s4, v36, v[6:7]
	v_add_u32_e32 v1, s6, v1
	global_store_dwordx2 v[0:1], v[4:5], off
	global_load_dwordx2 v[4:5], v55, s[2:3] offset:3456
	s_waitcnt vmcnt(0)
	v_mul_f32_e32 v6, v3, v5
	v_fmac_f32_e32 v6, v2, v4
	v_mul_f32_e32 v2, v2, v5
	v_fma_f32 v2, v4, v3, -v2
	v_cvt_f64_f32_e32 v[6:7], v6
	v_cvt_f64_f32_e32 v[2:3], v2
	v_mul_f64 v[6:7], v[6:7], s[0:1]
	v_mul_f64 v[2:3], v[2:3], s[0:1]
	v_mad_u64_u32 v[0:1], s[0:1], s4, v36, v[0:1]
	v_cvt_f32_f64_e32 v6, v[6:7]
	v_cvt_f32_f64_e32 v7, v[2:3]
	v_add_u32_e32 v1, s6, v1
	global_store_dwordx2 v[0:1], v[6:7], off
.LBB0_23:
	s_endpgm
	.section	.rodata,"a",@progbits
	.p2align	6, 0x0
	.amdhsa_kernel bluestein_single_fwd_len468_dim1_sp_op_CI_CI
		.amdhsa_group_segment_fixed_size 3744
		.amdhsa_private_segment_fixed_size 0
		.amdhsa_kernarg_size 104
		.amdhsa_user_sgpr_count 2
		.amdhsa_user_sgpr_dispatch_ptr 0
		.amdhsa_user_sgpr_queue_ptr 0
		.amdhsa_user_sgpr_kernarg_segment_ptr 1
		.amdhsa_user_sgpr_dispatch_id 0
		.amdhsa_user_sgpr_kernarg_preload_length 0
		.amdhsa_user_sgpr_kernarg_preload_offset 0
		.amdhsa_user_sgpr_private_segment_size 0
		.amdhsa_uses_dynamic_stack 0
		.amdhsa_enable_private_segment 0
		.amdhsa_system_sgpr_workgroup_id_x 1
		.amdhsa_system_sgpr_workgroup_id_y 0
		.amdhsa_system_sgpr_workgroup_id_z 0
		.amdhsa_system_sgpr_workgroup_info 0
		.amdhsa_system_vgpr_workitem_id 0
		.amdhsa_next_free_vgpr 200
		.amdhsa_next_free_sgpr 56
		.amdhsa_accum_offset 200
		.amdhsa_reserve_vcc 1
		.amdhsa_float_round_mode_32 0
		.amdhsa_float_round_mode_16_64 0
		.amdhsa_float_denorm_mode_32 3
		.amdhsa_float_denorm_mode_16_64 3
		.amdhsa_dx10_clamp 1
		.amdhsa_ieee_mode 1
		.amdhsa_fp16_overflow 0
		.amdhsa_tg_split 0
		.amdhsa_exception_fp_ieee_invalid_op 0
		.amdhsa_exception_fp_denorm_src 0
		.amdhsa_exception_fp_ieee_div_zero 0
		.amdhsa_exception_fp_ieee_overflow 0
		.amdhsa_exception_fp_ieee_underflow 0
		.amdhsa_exception_fp_ieee_inexact 0
		.amdhsa_exception_int_div_zero 0
	.end_amdhsa_kernel
	.text
.Lfunc_end0:
	.size	bluestein_single_fwd_len468_dim1_sp_op_CI_CI, .Lfunc_end0-bluestein_single_fwd_len468_dim1_sp_op_CI_CI
                                        ; -- End function
	.section	.AMDGPU.csdata,"",@progbits
; Kernel info:
; codeLenInByte = 11796
; NumSgprs: 62
; NumVgprs: 200
; NumAgprs: 0
; TotalNumVgprs: 200
; ScratchSize: 0
; MemoryBound: 0
; FloatMode: 240
; IeeeMode: 1
; LDSByteSize: 3744 bytes/workgroup (compile time only)
; SGPRBlocks: 7
; VGPRBlocks: 24
; NumSGPRsForWavesPerEU: 62
; NumVGPRsForWavesPerEU: 200
; AccumOffset: 200
; Occupancy: 2
; WaveLimiterHint : 1
; COMPUTE_PGM_RSRC2:SCRATCH_EN: 0
; COMPUTE_PGM_RSRC2:USER_SGPR: 2
; COMPUTE_PGM_RSRC2:TRAP_HANDLER: 0
; COMPUTE_PGM_RSRC2:TGID_X_EN: 1
; COMPUTE_PGM_RSRC2:TGID_Y_EN: 0
; COMPUTE_PGM_RSRC2:TGID_Z_EN: 0
; COMPUTE_PGM_RSRC2:TIDIG_COMP_CNT: 0
; COMPUTE_PGM_RSRC3_GFX90A:ACCUM_OFFSET: 49
; COMPUTE_PGM_RSRC3_GFX90A:TG_SPLIT: 0
	.text
	.p2alignl 6, 3212836864
	.fill 256, 4, 3212836864
	.type	__hip_cuid_68fc1beac051bd99,@object ; @__hip_cuid_68fc1beac051bd99
	.section	.bss,"aw",@nobits
	.globl	__hip_cuid_68fc1beac051bd99
__hip_cuid_68fc1beac051bd99:
	.byte	0                               ; 0x0
	.size	__hip_cuid_68fc1beac051bd99, 1

	.ident	"AMD clang version 19.0.0git (https://github.com/RadeonOpenCompute/llvm-project roc-6.4.0 25133 c7fe45cf4b819c5991fe208aaa96edf142730f1d)"
	.section	".note.GNU-stack","",@progbits
	.addrsig
	.addrsig_sym __hip_cuid_68fc1beac051bd99
	.amdgpu_metadata
---
amdhsa.kernels:
  - .agpr_count:     0
    .args:
      - .actual_access:  read_only
        .address_space:  global
        .offset:         0
        .size:           8
        .value_kind:     global_buffer
      - .actual_access:  read_only
        .address_space:  global
        .offset:         8
        .size:           8
        .value_kind:     global_buffer
      - .actual_access:  read_only
        .address_space:  global
        .offset:         16
        .size:           8
        .value_kind:     global_buffer
      - .actual_access:  read_only
        .address_space:  global
        .offset:         24
        .size:           8
        .value_kind:     global_buffer
      - .actual_access:  read_only
        .address_space:  global
        .offset:         32
        .size:           8
        .value_kind:     global_buffer
      - .offset:         40
        .size:           8
        .value_kind:     by_value
      - .address_space:  global
        .offset:         48
        .size:           8
        .value_kind:     global_buffer
      - .address_space:  global
        .offset:         56
        .size:           8
        .value_kind:     global_buffer
      - .address_space:  global
        .offset:         64
        .size:           8
        .value_kind:     global_buffer
      - .address_space:  global
        .offset:         72
        .size:           8
        .value_kind:     global_buffer
      - .offset:         80
        .size:           4
        .value_kind:     by_value
      - .address_space:  global
        .offset:         88
        .size:           8
        .value_kind:     global_buffer
      - .address_space:  global
        .offset:         96
        .size:           8
        .value_kind:     global_buffer
    .group_segment_fixed_size: 3744
    .kernarg_segment_align: 8
    .kernarg_segment_size: 104
    .language:       OpenCL C
    .language_version:
      - 2
      - 0
    .max_flat_workgroup_size: 52
    .name:           bluestein_single_fwd_len468_dim1_sp_op_CI_CI
    .private_segment_fixed_size: 0
    .sgpr_count:     62
    .sgpr_spill_count: 0
    .symbol:         bluestein_single_fwd_len468_dim1_sp_op_CI_CI.kd
    .uniform_work_group_size: 1
    .uses_dynamic_stack: false
    .vgpr_count:     200
    .vgpr_spill_count: 0
    .wavefront_size: 64
amdhsa.target:   amdgcn-amd-amdhsa--gfx950
amdhsa.version:
  - 1
  - 2
...

	.end_amdgpu_metadata
